;; amdgpu-corpus repo=ggml-org/llama.cpp kind=compiled arch=gfx1250 opt=O3
	.amdgcn_target "amdgcn-amd-amdhsa--gfx1250"
	.amdhsa_code_object_version 6
	.section	.text._ZL18flash_attn_ext_vecILi64ELi1EL9ggml_type1ELS0_1ELb0EEvPKcS2_S2_S2_S2_PKiPfP15HIP_vector_typeIfLj2EEffffjfiS6_IjLj3EEiiiiiiiiiiiliiliiiiil,"axG",@progbits,_ZL18flash_attn_ext_vecILi64ELi1EL9ggml_type1ELS0_1ELb0EEvPKcS2_S2_S2_S2_PKiPfP15HIP_vector_typeIfLj2EEffffjfiS6_IjLj3EEiiiiiiiiiiiliiliiiiil,comdat
	.globl	_ZL18flash_attn_ext_vecILi64ELi1EL9ggml_type1ELS0_1ELb0EEvPKcS2_S2_S2_S2_PKiPfP15HIP_vector_typeIfLj2EEffffjfiS6_IjLj3EEiiiiiiiiiiiliiliiiiil ; -- Begin function _ZL18flash_attn_ext_vecILi64ELi1EL9ggml_type1ELS0_1ELb0EEvPKcS2_S2_S2_S2_PKiPfP15HIP_vector_typeIfLj2EEffffjfiS6_IjLj3EEiiiiiiiiiiiliiliiiiil
	.p2align	8
	.type	_ZL18flash_attn_ext_vecILi64ELi1EL9ggml_type1ELS0_1ELb0EEvPKcS2_S2_S2_S2_PKiPfP15HIP_vector_typeIfLj2EEffffjfiS6_IjLj3EEiiiiiiiiiiiliiliiiiil,@function
_ZL18flash_attn_ext_vecILi64ELi1EL9ggml_type1ELS0_1ELb0EEvPKcS2_S2_S2_S2_PKiPfP15HIP_vector_typeIfLj2EEffffjfiS6_IjLj3EEiiiiiiiiiiiliiliiiiil: ; @_ZL18flash_attn_ext_vecILi64ELi1EL9ggml_type1ELS0_1ELb0EEvPKcS2_S2_S2_S2_PKiPfP15HIP_vector_typeIfLj2EEffffjfiS6_IjLj3EEiiiiiiiiiiiliiliiiiil
; %bb.0:
	s_clause 0x2
	s_load_b64 s[24:25], s[0:1], 0x64
	s_load_b64 s[28:29], s[0:1], 0x80
	;; [unrolled: 1-line block ×3, first 2 shown]
	s_bfe_u32 s6, ttmp6, 0x40014
	s_lshr_b32 s5, ttmp7, 16
	s_add_co_i32 s6, s6, 1
	s_bfe_u32 s7, ttmp6, 0x40008
	s_mul_i32 s6, s5, s6
	s_getreg_b32 s27, hwreg(HW_REG_IB_STS2, 6, 4)
	s_add_co_i32 s7, s7, s6
	s_load_b128 s[20:23], s[0:1], 0x40
	v_mov_b32_e32 v46, 1.0
	s_mov_b32 s35, 0
	s_wait_kmcnt 0x0
	s_cvt_f32_u32 s4, s25
	s_sub_co_i32 s8, 0, s25
	s_delay_alu instid0(SALU_CYCLE_2) | instskip(SKIP_1) | instid1(TRANS32_DEP_1)
	v_rcp_iflag_f32_e32 v1, s4
	v_nop
	v_readfirstlane_b32 s4, v1
	s_mul_f32 s4, s4, 0x4f7ffffe
	s_delay_alu instid0(SALU_CYCLE_3) | instskip(NEXT) | instid1(SALU_CYCLE_3)
	s_cvt_u32_f32 s4, s4
	s_mul_i32 s8, s8, s4
	s_delay_alu instid0(SALU_CYCLE_1) | instskip(NEXT) | instid1(SALU_CYCLE_1)
	s_mul_hi_u32 s8, s4, s8
	s_add_co_i32 s4, s4, s8
	s_cmp_eq_u32 s27, 0
	s_cselect_b32 s5, s5, s7
	s_delay_alu instid0(SALU_CYCLE_1) | instskip(NEXT) | instid1(SALU_CYCLE_1)
	s_mul_hi_u32 s4, s5, s4
	s_mul_i32 s6, s4, s25
	s_add_co_i32 s7, s4, 1
	s_sub_co_i32 s6, s5, s6
	s_delay_alu instid0(SALU_CYCLE_1)
	s_sub_co_i32 s8, s6, s25
	s_cmp_ge_u32 s6, s25
	s_cselect_b32 s4, s7, s4
	s_cselect_b32 s6, s8, s6
	s_add_co_i32 s7, s4, 1
	s_cmp_ge_u32 s6, s25
	s_cselect_b32 s26, s7, s4
	s_abs_i32 s4, s29
	s_abs_i32 s9, s25
	s_cvt_f32_u32 s6, s4
	s_sub_co_i32 s7, 0, s4
	s_xor_b32 s8, s25, s29
	s_delay_alu instid0(SALU_CYCLE_1) | instskip(SKIP_2) | instid1(TRANS32_DEP_1)
	v_rcp_iflag_f32_e32 v1, s6
	s_ashr_i32 s8, s8, 31
	v_nop
	v_readfirstlane_b32 s6, v1
	s_mul_f32 s6, s6, 0x4f7ffffe
	s_delay_alu instid0(SALU_CYCLE_3) | instskip(NEXT) | instid1(SALU_CYCLE_3)
	s_cvt_u32_f32 s6, s6
	s_mul_i32 s7, s7, s6
	s_delay_alu instid0(SALU_CYCLE_1) | instskip(NEXT) | instid1(SALU_CYCLE_1)
	s_mul_hi_u32 s7, s6, s7
	s_add_co_i32 s6, s6, s7
	s_mul_i32 s7, s26, s25
	s_mul_hi_u32 s6, s9, s6
	s_sub_co_i32 s29, s5, s7
	s_mul_i32 s10, s6, s4
	s_add_co_i32 s7, s6, 1
	s_sub_co_i32 s5, s9, s10
	s_delay_alu instid0(SALU_CYCLE_1)
	s_sub_co_i32 s9, s5, s4
	s_cmp_ge_u32 s5, s4
	s_cselect_b32 s6, s7, s6
	s_cselect_b32 s5, s9, s5
	s_add_co_i32 s7, s6, 1
	s_cmp_ge_u32 s5, s4
	s_cselect_b32 s4, s7, s6
	s_abs_i32 s2, s2
	s_xor_b32 s5, s4, s8
	s_load_b32 s4, s[0:1], 0x50
	s_sub_co_i32 s30, s5, s8
	s_cvt_f32_u32 s5, s2
	s_abs_i32 s36, s30
	s_cmp_le_f32 s21, 0
	s_cvt_f32_u32 s6, s36
	v_rcp_iflag_f32_e32 v1, s5
	s_delay_alu instid0(SALU_CYCLE_2) | instskip(NEXT) | instid1(TRANS32_DEP_2)
	v_rcp_iflag_f32_e32 v2, s6
	v_readfirstlane_b32 s21, v1
	s_delay_alu instid0(TRANS32_DEP_1)
	v_readfirstlane_b32 s31, v2
	s_cbranch_scc1 .LBB0_2
; %bb.1:
	s_wait_kmcnt 0x0
	v_sub_co_u32 v1, s4, s29, s4
	s_and_b32 s6, s4, exec_lo
	s_cselect_b32 s6, s22, s23
	s_add_co_i32 s7, s29, 1
	v_readfirstlane_b32 s5, v1
	s_lshl_b32 s5, s5, 1
	s_delay_alu instid0(SALU_CYCLE_1) | instskip(SKIP_4) | instid1(SALU_CYCLE_3)
	s_or_b32 s5, s5, 1
	s_and_b32 s4, s4, exec_lo
	s_cselect_b32 s4, s7, s5
	s_cmp_neq_f32 s6, 1.0
	s_cvt_f32_i32 s4, s4
	s_cselect_b32 s5, s4, 1.0
	s_delay_alu instid0(SALU_CYCLE_1) | instskip(SKIP_1) | instid1(SALU_CYCLE_1)
	s_cmp_neq_f32 s5, 0
	s_cselect_b32 s4, s6, 1.0
	v_cvt_f64_f32_e64 v[2:3], |s4|
	s_delay_alu instid0(VALU_DEP_1) | instskip(SKIP_1) | instid1(VALU_DEP_1)
	v_frexp_exp_i32_f64_e32 v1, v[2:3]
	v_frexp_mant_f32_e64 v2, |s4|
	v_readfirstlane_b32 s6, v2
	s_cmp_lt_f32 s6, 0x3f2aaaab
	s_cselect_b32 vcc_lo, -1, 0
	s_delay_alu instid0(SALU_CYCLE_1) | instskip(SKIP_1) | instid1(SALU_CYCLE_1)
	s_and_b32 s7, vcc_lo, exec_lo
	s_cselect_b32 s7, 2.0, 1.0
	s_mul_f32 s6, s6, s7
	s_delay_alu instid0(SALU_CYCLE_3) | instskip(SKIP_1) | instid1(SALU_CYCLE_2)
	s_add_f32 s7, s6, 1.0
	s_add_f32 s9, s6, -1.0
	v_s_rcp_f32 s8, s7
	s_add_f32 s12, s7, -1.0
	v_subrev_co_ci_u32_e64 v1, null, 0, v1, vcc_lo
	s_delay_alu instid0(SALU_CYCLE_2) | instskip(NEXT) | instid1(TRANS32_DEP_1)
	s_sub_f32 s6, s6, s12
	s_mul_f32 s10, s9, s8
	v_cvt_f32_i32_e32 v1, v1
	s_delay_alu instid0(SALU_CYCLE_2) | instskip(NEXT) | instid1(SALU_CYCLE_3)
	s_mul_f32 s11, s7, s10
	v_dual_mov_b32 v3, s9 :: v_dual_mov_b32 v4, s11
	s_xor_b32 s13, s11, 0x80000000
	s_delay_alu instid0(SALU_CYCLE_1) | instskip(NEXT) | instid1(SALU_CYCLE_3)
	s_fmac_f32 s13, s10, s7
	s_fmac_f32 s13, s10, s6
	s_delay_alu instid0(SALU_CYCLE_3) | instskip(SKIP_2) | instid1(SALU_CYCLE_1)
	s_add_f32 s6, s11, s13
	v_mov_b32_e32 v6, s13
	s_mov_b32 s11, 0x3e76c4e1
	s_sub_f32 s7, s9, s6
	v_dual_mov_b32 v2, s6 :: v_dual_mov_b32 v7, s6
	s_delay_alu instid0(SALU_CYCLE_2) | instskip(NEXT) | instid1(VALU_DEP_1)
	v_mov_b32_e32 v5, s7
	v_pk_add_f32 v[2:3], v[2:3], v[4:5] neg_lo:[0,1] neg_hi:[0,1]
	s_delay_alu instid0(VALU_DEP_1) | instskip(NEXT) | instid1(VALU_DEP_1)
	v_pk_add_f32 v[2:3], v[2:3], v[6:7] neg_lo:[0,1] neg_hi:[0,1]
	v_readfirstlane_b32 s6, v3
	s_delay_alu instid0(VALU_DEP_2) | instskip(SKIP_1) | instid1(SALU_CYCLE_3)
	v_readfirstlane_b32 s9, v2
	s_add_f32 s6, s9, s6
	s_add_f32 s6, s7, s6
	s_delay_alu instid0(SALU_CYCLE_3) | instskip(NEXT) | instid1(SALU_CYCLE_3)
	s_mul_f32 s7, s8, s6
	s_add_f32 s6, s10, s7
	s_delay_alu instid0(SALU_CYCLE_3) | instskip(SKIP_1) | instid1(SALU_CYCLE_2)
	s_sub_f32 s8, s6, s10
	s_mul_f32 s9, s6, s6
	s_sub_f32 s10, s7, s8
	s_delay_alu instid0(SALU_CYCLE_2) | instskip(NEXT) | instid1(SALU_CYCLE_1)
	s_xor_b32 s7, s9, 0x80000000
	s_fmac_f32 s7, s6, s6
	s_delay_alu instid0(SALU_CYCLE_1) | instskip(NEXT) | instid1(SALU_CYCLE_3)
	s_add_f32 s8, s10, s10
	s_fmac_f32 s7, s6, s8
	s_delay_alu instid0(SALU_CYCLE_3) | instskip(NEXT) | instid1(SALU_CYCLE_3)
	s_add_f32 s8, s9, s7
	s_fmaak_f32 s11, s8, s11, 0x3e91f4c4
	s_sub_f32 s9, s8, s9
	s_delay_alu instid0(SALU_CYCLE_2) | instskip(NEXT) | instid1(SALU_CYCLE_2)
	s_fmaak_f32 s11, s8, s11, 0x3ecccdef
	s_sub_f32 s14, s7, s9
	s_delay_alu instid0(SALU_CYCLE_2) | instskip(NEXT) | instid1(SALU_CYCLE_3)
	s_mul_f32 s12, s8, s11
	s_xor_b32 s13, s12, 0x80000000
	s_delay_alu instid0(SALU_CYCLE_1) | instskip(NEXT) | instid1(SALU_CYCLE_3)
	s_fmac_f32 s13, s8, s11
	s_fmac_f32 s13, s14, s11
	s_delay_alu instid0(SALU_CYCLE_3) | instskip(NEXT) | instid1(SALU_CYCLE_3)
	s_add_f32 s9, s12, s13
	s_sub_f32 s7, s9, s12
	s_add_f32 s11, s9, 0x3f2aaaaa
	s_delay_alu instid0(SALU_CYCLE_2) | instskip(NEXT) | instid1(SALU_CYCLE_2)
	s_sub_f32 s7, s13, s7
	s_add_f32 s12, s11, 0xbf2aaaaa
	s_delay_alu instid0(SALU_CYCLE_2) | instskip(NEXT) | instid1(SALU_CYCLE_2)
	s_add_f32 s7, s7, 0x31739010
	s_sub_f32 s9, s9, s12
	s_delay_alu instid0(SALU_CYCLE_2) | instskip(NEXT) | instid1(SALU_CYCLE_2)
	v_mov_b64_e32 v[2:3], s[6:7]
	v_mov_b64_e32 v[4:5], s[8:9]
	s_delay_alu instid0(VALU_DEP_1) | instskip(SKIP_2) | instid1(VALU_DEP_3)
	v_pk_mul_f32 v[6:7], v[2:3], v[4:5]
	v_pk_add_f32 v[2:3], v[2:3], v[4:5]
	v_mov_b32_e32 v9, s11
	v_xor_b32_e32 v8, 0x80000000, v6
	s_delay_alu instid0(VALU_DEP_3) | instskip(NEXT) | instid1(VALU_DEP_2)
	v_mov_b32_e32 v7, v3
	v_fmac_f32_e64 v8, s8, s6
	s_delay_alu instid0(VALU_DEP_1) | instskip(NEXT) | instid1(VALU_DEP_1)
	v_fmac_f32_e64 v8, s8, s10
	v_fmac_f32_e64 v8, s14, s6
	s_delay_alu instid0(VALU_DEP_1) | instskip(NEXT) | instid1(VALU_DEP_1)
	v_pk_add_f32 v[4:5], v[6:7], v[8:9]
	v_dual_mov_b32 v2, v5 :: v_dual_sub_f32 v7, s11, v5
	v_mul_f32_e32 v12, 0x3f317218, v1
	s_delay_alu instid0(VALU_DEP_2) | instskip(NEXT) | instid1(VALU_DEP_3)
	v_pk_mul_f32 v[10:11], v[4:5], v[2:3]
	v_add_f32_e32 v3, v3, v7
	s_delay_alu instid0(VALU_DEP_3) | instskip(NEXT) | instid1(VALU_DEP_3)
	v_xor_b32_e32 v7, 0x80000000, v12
	v_xor_b32_e32 v2, 0x80000000, v10
	s_delay_alu instid0(VALU_DEP_2) | instskip(NEXT) | instid1(VALU_DEP_2)
	v_dual_sub_f32 v6, v4, v6 :: v_dual_fmac_f32 v7, 0x3f317218, v1
	v_fmac_f32_e32 v2, v4, v5
	s_delay_alu instid0(VALU_DEP_2) | instskip(NEXT) | instid1(VALU_DEP_2)
	v_sub_f32_e32 v6, v8, v6
	v_fmac_f32_e32 v2, v4, v3
	s_delay_alu instid0(VALU_DEP_1) | instskip(SKIP_3) | instid1(VALU_DEP_2)
	v_fmac_f32_e32 v2, v6, v5
	v_fmamk_f32 v4, v1, 0xb102e308, v7
	v_ldexp_f32 v5, s6, 1
	v_ldexp_f32 v1, s10, 1
	v_dual_add_f32 v13, v10, v2 :: v_dual_mov_b32 v11, v5
	s_delay_alu instid0(VALU_DEP_1) | instskip(SKIP_1) | instid1(VALU_DEP_2)
	v_pk_add_f32 v[6:7], v[12:13], v[4:5]
	v_dual_mov_b32 v8, v13 :: v_dual_mov_b32 v3, v13
	v_dual_mov_b32 v9, v7 :: v_dual_mov_b32 v5, v6
	v_mov_b32_e32 v14, v7
	s_delay_alu instid0(VALU_DEP_2) | instskip(NEXT) | instid1(VALU_DEP_1)
	v_pk_add_f32 v[8:9], v[8:9], v[10:11] neg_lo:[0,1] neg_hi:[0,1]
	v_pk_add_f32 v[2:3], v[2:3], v[8:9] neg_lo:[0,1] neg_hi:[0,1]
	s_delay_alu instid0(VALU_DEP_1) | instskip(NEXT) | instid1(VALU_DEP_1)
	v_add_f32_e32 v1, v1, v2
	v_add_f32_e32 v13, v1, v3
	s_delay_alu instid0(VALU_DEP_1) | instskip(SKIP_1) | instid1(VALU_DEP_2)
	v_pk_add_f32 v[2:3], v[6:7], v[12:13]
	v_pk_add_f32 v[8:9], v[6:7], v[12:13] neg_lo:[0,1] neg_hi:[0,1]
	v_mov_b32_e32 v9, v3
	s_delay_alu instid0(VALU_DEP_1) | instskip(SKIP_2) | instid1(VALU_DEP_3)
	v_pk_add_f32 v[10:11], v[4:5], v[8:9]
	v_pk_add_f32 v[4:5], v[4:5], v[8:9] neg_lo:[0,1] neg_hi:[0,1]
	v_dual_mov_b32 v16, v3 :: v_dual_mov_b32 v5, v6
	v_dual_mov_b32 v12, v11 :: v_dual_mov_b32 v17, v11
	s_delay_alu instid0(VALU_DEP_3) | instskip(NEXT) | instid1(VALU_DEP_2)
	v_readfirstlane_b32 s6, v4
	v_pk_add_f32 v[8:9], v[12:13], v[6:7] neg_lo:[0,1] neg_hi:[0,1]
	s_delay_alu instid0(VALU_DEP_2) | instskip(NEXT) | instid1(VALU_DEP_2)
	v_dual_mov_b32 v4, v13 :: v_dual_mov_b32 v10, s6
	v_dual_mov_b32 v15, v8 :: v_dual_mov_b32 v1, v8
	s_delay_alu instid0(VALU_DEP_1) | instskip(NEXT) | instid1(VALU_DEP_2)
	v_pk_add_f32 v[6:7], v[16:17], v[14:15] neg_lo:[0,1] neg_hi:[0,1]
	v_pk_add_f32 v[2:3], v[2:3], v[0:1] neg_lo:[0,1] neg_hi:[0,1]
	v_mov_b32_e32 v2, s6
	s_delay_alu instid0(VALU_DEP_3) | instskip(NEXT) | instid1(VALU_DEP_1)
	v_pk_add_f32 v[4:5], v[4:5], v[6:7] neg_lo:[0,1] neg_hi:[0,1]
	v_pk_add_f32 v[2:3], v[2:3], v[4:5]
	s_delay_alu instid0(VALU_DEP_1) | instskip(NEXT) | instid1(VALU_DEP_2)
	v_readfirstlane_b32 s7, v2
	v_mov_b32_e32 v6, v3
	s_delay_alu instid0(VALU_DEP_1) | instskip(NEXT) | instid1(VALU_DEP_3)
	v_pk_add_f32 v[6:7], v[2:3], v[6:7]
	v_mov_b32_e32 v2, s7
	s_delay_alu instid0(VALU_DEP_2) | instskip(SKIP_1) | instid1(VALU_DEP_2)
	v_pk_add_f32 v[8:9], v[12:13], v[6:7]
	v_mov_b32_e32 v5, v6
	v_readfirstlane_b32 s8, v8
	s_delay_alu instid0(VALU_DEP_1) | instskip(NEXT) | instid1(VALU_DEP_1)
	v_mov_b32_e32 v3, s8
	v_pk_add_f32 v[2:3], v[2:3], v[10:11] neg_lo:[0,1] neg_hi:[0,1]
	s_delay_alu instid0(VALU_DEP_1) | instskip(NEXT) | instid1(VALU_DEP_2)
	v_readfirstlane_b32 s9, v2
	v_pk_add_f32 v[2:3], v[4:5], v[2:3] neg_lo:[0,1] neg_hi:[0,1]
	s_sub_f32 s7, s7, s9
	s_delay_alu instid0(VALU_DEP_1) | instskip(NEXT) | instid1(SALU_CYCLE_2)
	v_readfirstlane_b32 s9, v2
	s_sub_f32 s6, s6, s7
	v_readfirstlane_b32 s7, v3
	s_delay_alu instid0(SALU_CYCLE_2) | instskip(NEXT) | instid1(SALU_CYCLE_3)
	s_add_f32 s6, s9, s6
	s_add_f32 s6, s6, s7
	s_delay_alu instid0(SALU_CYCLE_3) | instskip(NEXT) | instid1(SALU_CYCLE_3)
	s_add_f32 s7, s8, s6
	s_mul_f32 s9, s5, s7
	s_sub_f32 s8, s7, s8
	s_delay_alu instid0(SALU_CYCLE_2) | instskip(NEXT) | instid1(SALU_CYCLE_2)
	s_xor_b32 s10, s9, 0x80000000
	s_sub_f32 s6, s6, s8
	s_fmac_f32 s10, s5, s7
	s_delay_alu instid0(SALU_CYCLE_3) | instskip(SKIP_1) | instid1(SALU_CYCLE_2)
	s_fmac_f32 s10, s5, s6
	v_cmp_class_f32_e64 s6, s9, 0x204
	s_add_f32 s7, s9, s10
	s_and_b32 s6, s6, exec_lo
	s_delay_alu instid0(SALU_CYCLE_2) | instskip(SKIP_1) | instid1(SALU_CYCLE_1)
	s_sub_f32 s6, s7, s9
	s_cselect_b32 s7, s9, s7
	s_and_b32 s8, s7, 0x7fffffff
	s_delay_alu instid0(SALU_CYCLE_1) | instskip(SKIP_1) | instid1(SALU_CYCLE_2)
	s_sub_f32 s6, s10, s6
	s_cmp_neq_f32 s8, 0x7f800000
	s_cselect_b32 s6, s6, 0
	s_cmp_eq_f32 s7, 0x42b17218
	s_cselect_b32 s8, 0x37000000, 0
	s_delay_alu instid0(SALU_CYCLE_1) | instskip(SKIP_1) | instid1(SALU_CYCLE_2)
	s_sub_f32 s7, s7, s8
	s_add_f32 s6, s8, s6
	s_mul_f32 s9, s7, 0x3fb8aa3b
	s_delay_alu instid0(SALU_CYCLE_3) | instskip(SKIP_3) | instid1(SALU_CYCLE_1)
	s_xor_b32 s10, s9, 0x80000000
	s_rndne_f32 s11, s9
	s_fmamk_f32 s10, s7, 0x3fb8aa3b, s10
	s_cmp_nlt_f32 s7, 0xc2ce8ed0
	s_sub_f32 s9, s9, s11
	s_delay_alu instid0(SALU_CYCLE_1)
	s_fmamk_f32 s10, s7, 0x32a5705f, s10
	s_cselect_b32 vcc_lo, -1, 0
	s_cmp_ngt_f32 s7, 0x42b17218
	s_trunc_f32 s7, s5
	s_add_f32 s9, s9, s10
	s_cvt_i32_f32 s10, s11
	s_delay_alu instid0(SALU_CYCLE_2)
	v_s_exp_f32 s9, s9
	v_nop
	s_delay_alu instid0(TRANS32_DEP_1) | instid1(SALU_CYCLE_1)
	v_ldexp_f32 v1, s9, s10
	s_mul_f32 s9, s5, 0.5
	s_delay_alu instid0(VALU_DEP_1) | instskip(SKIP_3) | instid1(VALU_DEP_1)
	v_cndmask_b32_e32 v1, 0, v1, vcc_lo
	s_cselect_b32 vcc_lo, -1, 0
	s_cmp_eq_f32 s7, s5
	s_trunc_f32 s10, s9
	v_cndmask_b32_e32 v1, 0x7f800000, v1, vcc_lo
	s_cselect_b32 s11, -1, 0
	s_delay_alu instid0(SALU_CYCLE_1) | instskip(NEXT) | instid1(VALU_DEP_1)
	s_cmp_neq_f32 s10, s9
	v_fma_f32 v2, s6, v1, v1
	v_cmp_class_f32_e64 vcc_lo, v1, 0x204
	s_cselect_b32 s8, -1, 0
	s_delay_alu instid0(SALU_CYCLE_1)
	s_and_b32 s6, s11, s8
	v_cndmask_b32_e32 v1, v2, v1, vcc_lo
	s_and_b32 s8, s6, exec_lo
	s_cselect_b32 s8, s4, 1.0
	s_cmp_eq_f32 s7, s5
	v_cmp_class_f32_e64 s7, s4, 0x204
	v_bfi_b32 v1, 0x7fffffff, v1, s8
	s_cselect_b32 vcc_lo, -1, 0
	s_cmp_lt_f32 s4, 0
	s_delay_alu instid0(VALU_DEP_1) | instskip(SKIP_2) | instid1(VALU_DEP_1)
	v_cndmask_b32_e32 v2, 0x7fc00000, v1, vcc_lo
	s_cselect_b32 vcc_lo, -1, 0
	s_cmp_eq_f32 s4, 0
	v_cndmask_b32_e32 v1, v1, v2, vcc_lo
	s_cselect_b32 s8, -1, 0
	s_delay_alu instid0(SALU_CYCLE_1) | instskip(SKIP_2) | instid1(SALU_CYCLE_1)
	s_or_b32 vcc_lo, s8, s7
	s_cmp_lt_f32 s5, 0
	s_cselect_b32 s5, -1, 0
	s_xor_b32 s5, s5, s8
	s_delay_alu instid0(SALU_CYCLE_1)
	s_and_b32 s5, s5, exec_lo
	s_cselect_b32 s5, 0, 0x7f800000
	s_and_b32 s6, s6, exec_lo
	s_cselect_b32 s6, s4, 0
	s_cmp_o_f32 s4, s4
	v_mov_b32_e32 v2, s6
	s_delay_alu instid0(VALU_DEP_1) | instskip(NEXT) | instid1(VALU_DEP_1)
	v_bfi_b32 v2, 0x7fffffff, s5, v2
	v_cndmask_b32_e32 v1, v1, v2, vcc_lo
	s_cselect_b32 vcc_lo, -1, 0
	s_delay_alu instid0(VALU_DEP_1)
	v_cndmask_b32_e32 v46, 0x7fc00000, v1, vcc_lo
.LBB0_2:
	s_load_b96 s[40:42], s[0:1], 0x70
	s_wait_kmcnt 0x0
	s_load_b512 s[4:19], s[0:1], 0x0
	s_bfe_u32 s22, ttmp6, 0x4000c
	v_and_b32_e32 v45, 0x3ff, v0
	s_add_co_i32 s22, s22, 1
	s_and_b32 s23, ttmp6, 15
	s_mul_i32 s22, ttmp9, s22
	s_delay_alu instid0(VALU_DEP_1) | instskip(SKIP_3) | instid1(VALU_DEP_1)
	v_dual_mov_b32 v47, 0 :: v_dual_lshlrev_b32 v41, 2, v45
	s_add_co_i32 s23, s23, s22
	s_cmp_eq_u32 s27, 0
	s_cselect_b32 s38, ttmp9, s23
	v_and_b32_e32 v42, 28, v41
	s_delay_alu instid0(VALU_DEP_1) | instskip(SKIP_4) | instid1(SALU_CYCLE_1)
	v_lshlrev_b32_e32 v1, 3, v42
	s_mul_i32 s22, s26, s42
	s_mul_i32 s23, s40, s38
	;; [unrolled: 1-line block ×3, first 2 shown]
	s_add_co_i32 s22, s22, s23
	s_add_co_i32 s22, s22, s33
	s_delay_alu instid0(SALU_CYCLE_1)
	s_ashr_i32 s23, s22, 31
	s_wait_kmcnt 0x0
	s_cmp_eq_u64 s[14:15], 0
	s_add_nc_u64 s[4:5], s[4:5], s[22:23]
	s_clause 0x1
	global_load_b128 v[2:5], v1, s[4:5] offset:16
	global_load_b128 v[6:9], v1, s[4:5]
	s_cbranch_scc1 .LBB0_4
; %bb.3:
	s_wait_xcnt 0x0
	s_load_b32 s4, s[0:1], 0xd0
	s_wait_kmcnt 0x0
	s_mul_i32 s4, s4, s26
	s_delay_alu instid0(SALU_CYCLE_1)
	s_add_co_i32 s4, s4, s38
	s_load_b32 s28, s[14:15], s4 offset:0x0 scale_offset
.LBB0_4:
	v_bfe_u32 v43, v0, 10, 10
	s_wait_xcnt 0x0
	s_bfe_u32 s5, ttmp6, 0x40010
	s_and_b32 s4, ttmp7, 0xffff
	s_add_co_i32 s5, s5, 1
	s_bfe_u32 s14, ttmp6, 0x40004
	v_lshlrev_b32_e32 v10, 5, v43
	s_mul_i32 s5, s4, s5
	v_mbcnt_lo_u32_b32 v44, -1, 0
	s_add_co_i32 s14, s14, s5
	s_cmp_eq_u32 s27, 0
	v_add_nc_u32_e32 v1, v10, v45
	s_cselect_b32 s33, s4, s14
	s_mov_b32 s15, 0
	s_lshl_b32 s39, s33, 7
	s_wait_kmcnt 0x0
	s_cmp_ge_i32 s39, s28
	v_lshlrev_b32_e32 v40, 1, v1
	s_cbranch_scc1 .LBB0_24
; %bb.5:
	s_mul_f32 s4, s31, 0x4f7ffffe
	s_mul_f32 s5, s21, 0x4f7ffffe
	s_sub_co_i32 s14, 0, s36
	s_sub_co_i32 s21, 0, s2
	s_cvt_u32_f32 s22, s4
	s_cvt_u32_f32 s5, s5
	s_cvt_f16_f32 s20, s20
	s_abs_i32 s34, s29
	s_mul_i32 s14, s14, s22
	s_mul_i32 s21, s21, s5
	s_mul_hi_u32 s14, s22, s14
	s_mul_hi_u32 s21, s5, s21
	s_abs_i32 s4, s26
	s_add_co_i32 s22, s22, s14
	s_add_co_i32 s40, s5, s21
	s_mov_b32 s23, s35
	s_mov_b32 s5, s35
	;; [unrolled: 1-line block ×3, first 2 shown]
	s_ashr_i32 s37, s30, 31
	s_mul_u64 s[42:43], s[34:35], s[22:23]
	s_mul_u64 s[40:41], s[4:5], s[40:41]
	s_and_b32 s5, 0xffff, s20
	s_clause 0x1
	s_load_b64 s[30:31], s[0:1], 0x8c
	s_load_b128 s[20:23], s[0:1], 0x98
	s_wait_loadcnt 0x0
	v_cvt_pk_f16_f32 v0, v6, v7
	s_mul_i32 s5, s5, 0x10001
	s_mul_i32 s35, s43, s36
	v_cvt_pk_f16_f32 v2, v2, v3
	s_ashr_i32 s14, s29, 31
	v_pk_mul_f16 v64, v0, s5
	v_and_b32_e32 v0, 0x78, v45
	s_sub_co_i32 s34, s34, s35
	s_ashr_i32 s27, s26, 31
	s_xor_b32 s14, s14, s37
	s_add_co_i32 s35, s43, 1
	v_add_nc_u32_e32 v0, v10, v0
	s_sub_co_i32 s37, s34, s36
	s_cmp_ge_u32 s34, s36
	v_pk_mul_f16 v66, v2, s5
	s_cselect_b32 s35, s35, s43
	s_cselect_b32 s34, s37, s34
	s_add_co_i32 s37, s35, 1
	s_wait_kmcnt 0x0
	v_mul_lo_u32 v2, v0, s30
	s_cmp_ge_u32 s34, s36
	v_cvt_pk_f16_f32 v6, v8, v9
	s_cselect_b32 s34, s37, s35
	v_cvt_pk_f16_f32 v3, v4, v5
	s_xor_b32 s34, s34, s14
	s_clause 0x1
	s_load_b64 s[36:37], s[0:1], 0xa8
	s_load_b64 s[42:43], s[0:1], 0xc8
	s_sub_co_i32 s14, s34, s14
	v_pk_mul_f16 v65, v6, s5
	s_mul_i32 s34, s14, s31
	s_mul_i32 s31, s41, s2
	v_add_nc_u32_e32 v4, s30, v2
	s_mul_i32 s40, s14, s23
	s_sub_co_i32 s4, s4, s31
	s_ashr_i32 s35, s34, 31
	s_ashr_i32 s41, s40, 31
	v_add_nc_u32_e32 v6, s30, v4
	s_sub_co_i32 s14, s4, s2
	s_cmp_ge_u32 s4, s2
	v_pk_mul_f16 v67, v3, s5
	s_cselect_b32 s4, s14, s4
	v_dual_lshlrev_b32 v3, 3, v45 :: v_dual_add_nc_u32 v8, s30, v6
	s_sub_co_i32 s14, s4, s2
	s_cmp_ge_u32 s4, s2
	v_dual_lshrrev_b32 v19, 3, v45 :: v_dual_bitop2_b32 v18, 7, v45 bitop3:0x40
	s_cselect_b32 s2, s14, s4
	v_dual_add_nc_u32 v12, s30, v8 :: v_dual_bitop2_b32 v36, 56, v3 bitop3:0x40
	v_ashrrev_i32_e32 v7, 31, v6
	s_xor_b32 s2, s2, s27
	s_mul_u64 s[4:5], s[20:21], s[26:27]
	s_sub_co_i32 s20, s2, s27
	v_dual_add_nc_u32 v14, s30, v12 :: v_dual_ashrrev_i32 v13, 31, v12
	s_ashr_i32 s21, s20, 31
	v_dual_ashrrev_i32 v9, 31, v8 :: v_dual_add_nc_u32 v23, v10, v19
	s_wait_kmcnt 0x0
	s_mul_u64 s[20:21], s[42:43], s[20:21]
	s_mul_i32 s2, s3, s38
	s_add_nc_u64 s[4:5], s[6:7], s[4:5]
	s_mul_u64 s[6:7], s[36:37], s[26:27]
	s_add_nc_u64 s[20:21], s[10:11], s[20:21]
	s_ashr_i32 s3, s2, 31
	v_dual_ashrrev_i32 v5, 31, v4 :: v_dual_add_nc_u32 v16, s30, v14
	v_or_b32_e32 v10, v10, v19
	v_dual_add_nc_u32 v19, 4, v23 :: v_dual_add_nc_u32 v21, 8, v23
	s_add_nc_u64 s[6:7], s[8:9], s[6:7]
	s_add_nc_u64 s[2:3], s[20:21], s[2:3]
	s_lshl_b32 s14, s39, 1
	s_add_nc_u64 s[6:7], s[6:7], s[40:41]
	s_add_nc_u64 s[20:21], s[2:3], s[14:15]
	s_mul_i32 s14, s22, s39
	s_add_nc_u64 s[36:37], s[4:5], s[34:35]
	s_add_nc_u64 s[34:35], s[6:7], s[14:15]
	v_cmp_eq_u32_e64 s2, 7, v18
	v_cmp_eq_u32_e64 s3, 0, v18
	;; [unrolled: 1-line block ×8, first 2 shown]
	v_add_nc_u32_e32 v18, s30, v16
	v_mul_lo_u32 v22, v19, s22
	v_mul_lo_u32 v24, v21, s22
	v_dual_add_nc_u32 v19, 12, v23 :: v_dual_bitop2_b32 v21, 16, v10 bitop3:0x54
	v_dual_add_nc_u32 v25, 20, v23 :: v_dual_add_nc_u32 v27, 24, v23
	v_add_nc_u32_e32 v29, 28, v23
	v_mul_lo_u32 v20, v10, s22
	s_delay_alu instid0(VALU_DEP_4)
	v_mul_lo_u32 v26, v19, s22
	v_mul_lo_u32 v28, v21, s22
	;; [unrolled: 1-line block ×4, first 2 shown]
	v_ashrrev_i32_e32 v19, 31, v18
	v_mul_lo_u32 v34, v29, s22
	v_dual_mov_b32 v11, 0 :: v_dual_ashrrev_i32 v3, 31, v2
	v_dual_ashrrev_i32 v15, 31, v14 :: v_dual_ashrrev_i32 v17, 31, v16
	v_dual_lshlrev_b32 v52, 1, v10 :: v_dual_ashrrev_i32 v21, 31, v20
	v_dual_lshlrev_b32 v53, 1, v23 :: v_dual_ashrrev_i32 v23, 31, v22
	v_dual_ashrrev_i32 v25, 31, v24 :: v_dual_ashrrev_i32 v27, 31, v26
	v_dual_ashrrev_i32 v29, 31, v28 :: v_dual_ashrrev_i32 v31, 31, v30
	;; [unrolled: 1-line block ×3, first 2 shown]
	v_dual_mov_b32 v55, 0xfeffffff :: v_dual_lshlrev_b32 v36, 1, v36
	v_dual_mov_b32 v49, 0 :: v_dual_mov_b32 v48, 0
	v_dual_mov_b32 v51, 0 :: v_dual_mov_b32 v50, 0
	v_mov_b32_e32 v47, 0
	s_mul_i32 s14, s30, s39
	s_cmp_lg_u64 s[10:11], 0
	s_add_nc_u64 s[10:11], s[36:37], s[14:15]
	s_cselect_b32 s23, -1, 0
	s_add_nc_u64 s[36:37], s[0:1], 0xd0
                                        ; implicit-def: $vgpr54
.LBB0_6:                                ; =>This Inner Loop Header: Depth=1
	v_dual_lshlrev_b32 v10, 2, v42 :: v_dual_bitop2_b32 v37, 4, v44 bitop3:0x14
	v_mov_b32_e32 v60, v11
	s_delay_alu instid0(VALU_DEP_2) | instskip(SKIP_1) | instid1(VALU_DEP_1)
	v_add_nc_u64_e32 v[38:39], s[10:11], v[10:11]
	v_and_b32_e32 v10, 24, v44
	v_add_nc_u32_e32 v10, 8, v10
	s_delay_alu instid0(VALU_DEP_3) | instskip(NEXT) | instid1(VALU_DEP_2)
	v_add_nc_u64_e32 v[56:57], v[38:39], v[2:3]
	v_cmp_lt_i32_e32 vcc_lo, v37, v10
	global_load_b128 v[56:59], v[56:57], off
	s_wait_loadcnt 0x0
	;;#ASMSTART
	v_dot2_f32_f16 v60, v56, v64, v60
	;;#ASMEND
	v_cndmask_b32_e32 v37, v44, v37, vcc_lo
	;;#ASMSTART
	v_dot2_f32_f16 v60, v57, v65, v60
	;;#ASMEND
	;;#ASMSTART
	v_dot2_f32_f16 v60, v58, v66, v60
	;;#ASMEND
	;;#ASMSTART
	v_dot2_f32_f16 v60, v59, v67, v60
	;;#ASMEND
	s_delay_alu instid0(VALU_DEP_1) | instskip(SKIP_1) | instid1(VALU_DEP_2)
	v_dual_lshlrev_b32 v37, 2, v37 :: v_dual_bitop2_b32 v57, 2, v44 bitop3:0x14
	v_xor_b32_e32 v58, 1, v44
	v_cmp_lt_i32_e32 vcc_lo, v57, v10
	ds_bpermute_b32 v56, v37, v60
	v_cndmask_b32_e32 v57, v44, v57, vcc_lo
	v_cmp_lt_i32_e32 vcc_lo, v58, v10
	s_delay_alu instid0(VALU_DEP_2)
	v_dual_cndmask_b32 v10, v44, v58 :: v_dual_lshlrev_b32 v61, 2, v57
	s_and_b32 vcc_lo, exec_lo, s23
	s_wait_dscnt 0x0
	v_add_f32_e32 v56, v60, v56
	ds_bpermute_b32 v57, v61, v56
	s_wait_dscnt 0x0
	v_dual_lshlrev_b32 v62, 2, v10 :: v_dual_add_f32 v10, v56, v57
	ds_bpermute_b32 v56, v62, v10
	s_wait_dscnt 0x0
	v_add_f32_e32 v10, v10, v56
	s_cbranch_vccz .LBB0_8
; %bb.7:                                ;   in Loop: Header=BB0_6 Depth=1
	global_load_u16 v56, v0, s[20:21] scale_offset
	s_wait_loadcnt 0x0
	v_fma_mix_f32 v10, v46, v56, v10 op_sel_hi:[0,1,0]
.LBB0_8:                                ;   in Loop: Header=BB0_6 Depth=1
	v_add_nc_u64_e32 v[56:57], v[38:39], v[4:5]
	v_mov_b32_e32 v60, v11
	s_and_not1_b32 vcc_lo, exec_lo, s23
	global_load_b128 v[56:59], v[56:57], off
	s_wait_loadcnt 0x0
	;;#ASMSTART
	v_dot2_f32_f16 v60, v56, v64, v60
	;;#ASMEND
	;;#ASMSTART
	v_dot2_f32_f16 v60, v57, v65, v60
	;;#ASMEND
	;; [unrolled: 3-line block ×4, first 2 shown]
	ds_bpermute_b32 v56, v37, v60
	s_wait_dscnt 0x0
	v_add_f32_e32 v56, v60, v56
	ds_bpermute_b32 v57, v61, v56
	s_wait_dscnt 0x0
	v_add_f32_e32 v56, v56, v57
	ds_bpermute_b32 v57, v62, v56
	s_wait_dscnt 0x0
	v_add_f32_e32 v56, v56, v57
	s_cbranch_vccnz .LBB0_10
; %bb.9:                                ;   in Loop: Header=BB0_6 Depth=1
	global_load_u16 v57, v0, s[20:21] offset:2 scale_offset
	s_wait_loadcnt 0x0
	v_fma_mix_f32 v56, v46, v57, v56 op_sel_hi:[0,1,0]
.LBB0_10:                               ;   in Loop: Header=BB0_6 Depth=1
	v_add_nc_u64_e32 v[58:59], v[38:39], v[6:7]
	s_and_not1_b32 vcc_lo, exec_lo, s23
	global_load_b128 v[68:71], v[58:59], off
	s_wait_xcnt 0x0
	v_mov_b32_e32 v58, v11
	s_wait_loadcnt 0x0
	;;#ASMSTART
	v_dot2_f32_f16 v58, v68, v64, v58
	;;#ASMEND
	;;#ASMSTART
	v_dot2_f32_f16 v58, v69, v65, v58
	;;#ASMEND
	;; [unrolled: 3-line block ×4, first 2 shown]
	ds_bpermute_b32 v57, v37, v58
	s_wait_dscnt 0x0
	v_add_f32_e32 v57, v58, v57
	ds_bpermute_b32 v58, v61, v57
	s_wait_dscnt 0x0
	v_add_f32_e32 v57, v57, v58
	;; [unrolled: 3-line block ×3, first 2 shown]
	s_cbranch_vccnz .LBB0_12
; %bb.11:                               ;   in Loop: Header=BB0_6 Depth=1
	global_load_u16 v58, v0, s[20:21] offset:4 scale_offset
	s_wait_loadcnt 0x0
	v_fma_mix_f32 v57, v46, v58, v57 op_sel_hi:[0,1,0]
.LBB0_12:                               ;   in Loop: Header=BB0_6 Depth=1
	v_add_nc_u64_e32 v[58:59], v[38:39], v[8:9]
	s_and_not1_b32 vcc_lo, exec_lo, s23
	global_load_b128 v[68:71], v[58:59], off
	s_wait_xcnt 0x0
	v_mov_b32_e32 v59, v11
	s_wait_loadcnt 0x0
	;;#ASMSTART
	v_dot2_f32_f16 v59, v68, v64, v59
	;;#ASMEND
	;;#ASMSTART
	v_dot2_f32_f16 v59, v69, v65, v59
	;;#ASMEND
	;;#ASMSTART
	v_dot2_f32_f16 v59, v70, v66, v59
	;;#ASMEND
	;;#ASMSTART
	v_dot2_f32_f16 v59, v71, v67, v59
	;;#ASMEND
	ds_bpermute_b32 v58, v37, v59
	s_wait_dscnt 0x0
	v_add_f32_e32 v58, v59, v58
	ds_bpermute_b32 v59, v61, v58
	s_wait_dscnt 0x0
	v_add_f32_e32 v58, v58, v59
	ds_bpermute_b32 v59, v62, v58
	s_wait_dscnt 0x0
	v_add_f32_e32 v58, v58, v59
	s_cbranch_vccnz .LBB0_14
; %bb.13:                               ;   in Loop: Header=BB0_6 Depth=1
	global_load_u16 v59, v0, s[20:21] offset:6 scale_offset
	s_wait_loadcnt 0x0
	v_fma_mix_f32 v58, v46, v59, v58 op_sel_hi:[0,1,0]
.LBB0_14:                               ;   in Loop: Header=BB0_6 Depth=1
	v_add_nc_u64_e32 v[68:69], v[38:39], v[12:13]
	v_mov_b32_e32 v60, v11
	s_and_not1_b32 vcc_lo, exec_lo, s23
	global_load_b128 v[68:71], v[68:69], off
	s_wait_loadcnt 0x0
	;;#ASMSTART
	v_dot2_f32_f16 v60, v68, v64, v60
	;;#ASMEND
	;;#ASMSTART
	v_dot2_f32_f16 v60, v69, v65, v60
	;;#ASMEND
	;;#ASMSTART
	v_dot2_f32_f16 v60, v70, v66, v60
	;;#ASMEND
	;;#ASMSTART
	v_dot2_f32_f16 v60, v71, v67, v60
	;;#ASMEND
	ds_bpermute_b32 v59, v37, v60
	s_wait_dscnt 0x0
	v_add_f32_e32 v59, v60, v59
	ds_bpermute_b32 v60, v61, v59
	s_wait_dscnt 0x0
	v_add_f32_e32 v59, v59, v60
	ds_bpermute_b32 v60, v62, v59
	s_wait_dscnt 0x0
	v_add_f32_e32 v59, v59, v60
	s_cbranch_vccnz .LBB0_16
; %bb.15:                               ;   in Loop: Header=BB0_6 Depth=1
	global_load_u16 v60, v0, s[20:21] offset:8 scale_offset
	s_wait_loadcnt 0x0
	v_fma_mix_f32 v59, v46, v60, v59 op_sel_hi:[0,1,0]
.LBB0_16:                               ;   in Loop: Header=BB0_6 Depth=1
	v_add_nc_u64_e32 v[68:69], v[38:39], v[14:15]
	v_mov_b32_e32 v63, v11
	s_and_not1_b32 vcc_lo, exec_lo, s23
	global_load_b128 v[68:71], v[68:69], off
	;; [unrolled: 32-line block ×3, first 2 shown]
	s_wait_loadcnt 0x0
	;;#ASMSTART
	v_dot2_f32_f16 v72, v68, v64, v72
	;;#ASMEND
	;;#ASMSTART
	v_dot2_f32_f16 v72, v69, v65, v72
	;;#ASMEND
	;;#ASMSTART
	v_dot2_f32_f16 v72, v70, v66, v72
	;;#ASMEND
	;;#ASMSTART
	v_dot2_f32_f16 v72, v71, v67, v72
	;;#ASMEND
	ds_bpermute_b32 v63, v37, v72
	s_wait_dscnt 0x0
	v_add_f32_e32 v63, v72, v63
	ds_bpermute_b32 v68, v61, v63
	s_wait_dscnt 0x0
	v_add_f32_e32 v63, v63, v68
	;; [unrolled: 3-line block ×3, first 2 shown]
	s_cbranch_vccnz .LBB0_20
; %bb.19:                               ;   in Loop: Header=BB0_6 Depth=1
	global_load_u16 v68, v0, s[20:21] offset:12 scale_offset
	s_wait_loadcnt 0x0
	v_fma_mix_f32 v63, v46, v68, v63 op_sel_hi:[0,1,0]
.LBB0_20:                               ;   in Loop: Header=BB0_6 Depth=1
	v_add_nc_u64_e32 v[38:39], v[38:39], v[18:19]
	s_and_not1_b32 vcc_lo, exec_lo, s23
	global_load_b128 v[68:71], v[38:39], off
	s_wait_xcnt 0x0
	v_mov_b32_e32 v38, v11
	s_wait_loadcnt 0x0
	;;#ASMSTART
	v_dot2_f32_f16 v38, v68, v64, v38
	;;#ASMEND
	;;#ASMSTART
	v_dot2_f32_f16 v38, v69, v65, v38
	;;#ASMEND
	;; [unrolled: 3-line block ×4, first 2 shown]
	ds_bpermute_b32 v37, v37, v38
	s_wait_dscnt 0x0
	v_add_f32_e32 v37, v38, v37
	ds_bpermute_b32 v38, v61, v37
	s_wait_dscnt 0x0
	v_add_f32_e32 v37, v37, v38
	;; [unrolled: 3-line block ×3, first 2 shown]
	s_cbranch_vccnz .LBB0_22
; %bb.21:                               ;   in Loop: Header=BB0_6 Depth=1
	global_load_u16 v37, v0, s[20:21] offset:14 scale_offset
	s_wait_loadcnt 0x0
	v_fma_mix_f32 v38, v46, v37, v38 op_sel_hi:[0,1,0]
.LBB0_22:                               ;   in Loop: Header=BB0_6 Depth=1
	v_dual_mov_b32 v37, v11 :: v_dual_add_f32 v62, 0x40051340, v58
	v_add_f32_e32 v39, 0x40051340, v56
	v_add_f32_e32 v61, 0x40051340, v57
	s_mov_b32 s41, s15
	s_delay_alu instid0(VALU_DEP_3) | instskip(SKIP_2) | instid1(VALU_DEP_3)
	v_add_nc_u64_e32 v[92:93], s[34:35], v[36:37]
	v_add_f32_e32 v37, 0x40051340, v10
	v_cndmask_b32_e64 v10, v54, v10, s3
	v_add_nc_u64_e32 v[68:69], v[92:93], v[20:21]
	v_add_nc_u64_e32 v[72:73], v[92:93], v[22:23]
	v_add_nc_u64_e32 v[76:77], v[92:93], v[24:25]
	v_add_nc_u64_e32 v[80:81], v[92:93], v[26:27]
	v_add_nc_u64_e32 v[84:85], v[92:93], v[28:29]
	v_add_nc_u64_e32 v[88:89], v[92:93], v[30:31]
	v_add_nc_u64_e32 v[100:101], v[92:93], v[32:33]
	s_clause 0x5
	global_load_b128 v[68:71], v[68:69], off
	global_load_b128 v[72:75], v[72:73], off
	;; [unrolled: 1-line block ×6, first 2 shown]
	v_add_nc_u64_e32 v[102:103], v[92:93], v[34:35]
	s_clause 0x1
	global_load_b128 v[92:95], v[100:101], off
	global_load_b128 v[96:99], v[102:103], off
	s_wait_xcnt 0x1
	v_add_f32_e32 v100, 0x40051340, v59
	v_max3_num_f32 v37, v55, v37, v39
	v_xor_b32_e32 v39, 8, v44
	v_add_f32_e32 v101, 0x40051340, v60
	v_cndmask_b32_e64 v10, v10, v56, s4
	s_load_b32 s14, s[36:37], 0x4
	v_max3_num_f32 v37, v37, v61, v62
	v_cmp_gt_i32_e32 vcc_lo, 32, v39
	v_dual_add_f32 v61, 0x40051340, v63 :: v_dual_add_f32 v62, 0x40051340, v38
	v_cndmask_b32_e64 v10, v10, v57, s5
	s_delay_alu instid0(VALU_DEP_4) | instskip(NEXT) | instid1(VALU_DEP_2)
	v_max3_num_f32 v37, v37, v100, v101
	v_dual_cndmask_b32 v39, v44, v39, vcc_lo :: v_dual_cndmask_b32 v10, v10, v58, s6
	s_delay_alu instid0(VALU_DEP_2) | instskip(NEXT) | instid1(VALU_DEP_2)
	v_max3_num_f32 v37, v37, v61, v62
	v_dual_lshlrev_b32 v39, 2, v39 :: v_dual_bitop2_b32 v61, 16, v44 bitop3:0x14
	s_delay_alu instid0(VALU_DEP_3) | instskip(NEXT) | instid1(VALU_DEP_2)
	v_cndmask_b32_e64 v10, v10, v59, s7
	v_cmp_gt_i32_e32 vcc_lo, 32, v61
	ds_bpermute_b32 v39, v39, v37
	s_wait_kmcnt 0x0
	s_lshl_b32 s40, s14, 7
	v_cndmask_b32_e32 v54, v44, v61, vcc_lo
	s_mul_i32 s14, s40, s30
	s_add_co_i32 s39, s40, s39
	s_add_nc_u64 s[10:11], s[10:11], s[14:15]
	s_mul_i32 s14, s40, s22
	v_lshlrev_b32_e32 v54, 2, v54
	s_lshl_b64 s[40:41], s[40:41], 1
	s_add_nc_u64 s[34:35], s[34:35], s[14:15]
	s_cmp_ge_i32 s39, s28
	s_add_nc_u64 s[20:21], s[20:21], s[40:41]
	s_wait_dscnt 0x0
	v_max_num_f32_e32 v39, v39, v39
	s_delay_alu instid0(VALU_DEP_1) | instskip(SKIP_3) | instid1(VALU_DEP_1)
	v_max_num_f32_e32 v37, v37, v39
	ds_bpermute_b32 v39, v54, v37
	s_wait_dscnt 0x0
	v_dual_cndmask_b32 v10, v10, v60, s8 :: v_dual_max_num_f32 v39, v39, v39
	v_cndmask_b32_e64 v10, v10, v63, s9
	s_delay_alu instid0(VALU_DEP_1) | instskip(NEXT) | instid1(VALU_DEP_1)
	v_dual_cndmask_b32 v38, v10, v38, s2 :: v_dual_max_num_f32 v10, v37, v39
	v_dual_sub_f32 v37, v38, v10 :: v_dual_sub_f32 v39, v55, v10
	s_delay_alu instid0(VALU_DEP_1) | instskip(NEXT) | instid1(VALU_DEP_2)
	v_mul_f32_e32 v38, 0x3fb8aa3b, v37
	v_mul_f32_e32 v56, 0x3fb8aa3b, v39
	v_cmp_ngt_f32_e32 vcc_lo, 0xc2ce8ed0, v37
	s_delay_alu instid0(VALU_DEP_3) | instskip(SKIP_1) | instid1(VALU_DEP_4)
	v_fma_f32 v54, 0x3fb8aa3b, v37, -v38
	v_rndne_f32_e32 v55, v38
	v_fma_f32 v57, 0x3fb8aa3b, v39, -v56
	v_rndne_f32_e32 v58, v56
	s_delay_alu instid0(VALU_DEP_4) | instskip(NEXT) | instid1(VALU_DEP_4)
	v_fmac_f32_e32 v54, 0x32a5705f, v37
	v_sub_f32_e32 v38, v38, v55
	s_delay_alu instid0(VALU_DEP_4) | instskip(SKIP_1) | instid1(VALU_DEP_3)
	v_fmac_f32_e32 v57, 0x32a5705f, v39
	v_cvt_i32_f32_e32 v55, v55
	v_add_f32_e32 v38, v38, v54
	v_sub_f32_e32 v54, v56, v58
	s_delay_alu instid0(VALU_DEP_2) | instskip(NEXT) | instid1(VALU_DEP_1)
	v_exp_f32_e32 v38, v38
	v_add_f32_e32 v54, v54, v57
	s_delay_alu instid0(VALU_DEP_1) | instskip(NEXT) | instid1(TRANS32_DEP_2)
	v_exp_f32_e32 v54, v54
	v_ldexp_f32 v38, v38, v55
	v_cvt_i32_f32_e32 v55, v58
	s_delay_alu instid0(VALU_DEP_2)
	v_cndmask_b32_e32 v38, 0, v38, vcc_lo
	v_cmp_nlt_f32_e32 vcc_lo, 0x42b17218, v37
	s_delay_alu instid0(TRANS32_DEP_1) | instid1(VALU_DEP_3)
	v_ldexp_f32 v55, v54, v55
	s_delay_alu instid0(VALU_DEP_3) | instskip(SKIP_1) | instid1(VALU_DEP_2)
	v_cndmask_b32_e32 v54, 0x7f800000, v38, vcc_lo
	v_cmp_ngt_f32_e32 vcc_lo, 0xc2ce8ed0, v39
	v_cvt_f16_f32_e32 v38, v54
	s_delay_alu instid0(VALU_DEP_4)
	v_cndmask_b32_e32 v37, 0, v55, vcc_lo
	v_cmp_nlt_f32_e32 vcc_lo, 0x42b17218, v39
	ds_store_b16 v40, v38
	ds_load_u16 v38, v52
	ds_load_u16 v55, v53 offset:8
	ds_load_u16 v56, v53 offset:16
	v_cndmask_b32_e32 v37, 0x7f800000, v37, vcc_lo
	ds_load_u16 v57, v53 offset:24
	ds_load_u16 v58, v53 offset:40
	;; [unrolled: 1-line block ×5, first 2 shown]
	v_cvt_f16_f32_e32 v39, v37
	v_fma_f32 v47, v47, v37, v54
	s_delay_alu instid0(VALU_DEP_2) | instskip(NEXT) | instid1(VALU_DEP_1)
	v_and_b32_e32 v39, 0xffff, v39
	v_mul_u32_u24_e32 v39, 0x10001, v39
	s_wait_dscnt 0x7
	v_mul_u32_u24_e32 v38, 0x10001, v38
	s_delay_alu instid0(VALU_DEP_2)
	v_pk_mul_f16 v49, v49, v39
	v_pk_mul_f16 v50, v50, v39
	;; [unrolled: 1-line block ×4, first 2 shown]
	s_wait_dscnt 0x6
	v_mul_u32_u24_e32 v48, 0x10001, v55
	s_wait_loadcnt 0x7
	v_pk_fma_f16 v49, v68, v38, v49
	v_pk_fma_f16 v50, v69, v38, v50
	v_pk_fma_f16 v51, v70, v38, v51
	v_pk_fma_f16 v38, v71, v38, v39
	s_wait_dscnt 0x5
	v_mul_u32_u24_e32 v39, 0x10001, v56
	s_wait_loadcnt 0x6
	v_pk_fma_f16 v49, v72, v48, v49
	v_pk_fma_f16 v50, v73, v48, v50
	v_pk_fma_f16 v51, v74, v48, v51
	v_pk_fma_f16 v38, v75, v48, v38
	s_wait_dscnt 0x4
	v_mul_u32_u24_e32 v48, 0x10001, v57
	s_wait_loadcnt 0x5
	v_pk_fma_f16 v49, v76, v39, v49
	v_pk_fma_f16 v50, v77, v39, v50
	v_pk_fma_f16 v51, v78, v39, v51
	v_pk_fma_f16 v38, v79, v39, v38
	s_wait_dscnt 0x0
	v_mul_u32_u24_e32 v39, 0x10001, v61
	s_wait_loadcnt 0x4
	v_pk_fma_f16 v49, v80, v48, v49
	v_pk_fma_f16 v50, v81, v48, v50
	v_pk_fma_f16 v51, v82, v48, v51
	v_pk_fma_f16 v38, v83, v48, v38
	v_mul_u32_u24_e32 v48, 0x10001, v58
	s_wait_loadcnt 0x3
	v_pk_fma_f16 v49, v84, v39, v49
	v_pk_fma_f16 v50, v85, v39, v50
	v_pk_fma_f16 v51, v86, v39, v51
	v_pk_fma_f16 v38, v87, v39, v38
	v_mul_u32_u24_e32 v39, 0x10001, v59
	s_wait_loadcnt 0x2
	v_pk_fma_f16 v49, v88, v48, v49
	v_pk_fma_f16 v50, v89, v48, v50
	v_pk_fma_f16 v51, v90, v48, v51
	v_pk_fma_f16 v38, v91, v48, v38
	;; [unrolled: 6-line block ×3, first 2 shown]
	s_wait_loadcnt 0x0
	v_pk_fma_f16 v49, v96, v48, v49
	v_pk_fma_f16 v50, v97, v48, v50
	;; [unrolled: 1-line block ×4, first 2 shown]
	s_cbranch_scc1 .LBB0_25
; %bb.23:                               ;   in Loop: Header=BB0_6 Depth=1
	v_mov_b32_e32 v55, v10
	s_branch .LBB0_6
.LBB0_24:
	s_wait_loadcnt 0x1
	v_dual_mov_b32 v50, 0 :: v_dual_mov_b32 v2, 0
	v_dual_mov_b32 v10, 0xfeffffff :: v_dual_mov_b32 v3, 0
	;; [unrolled: 1-line block ×3, first 2 shown]
	v_mov_b32_e32 v48, 0
	s_branch .LBB0_26
.LBB0_25:
	s_delay_alu instid0(VALU_DEP_2)
	v_dual_mov_b32 v2, v51 :: v_dual_mov_b32 v3, v50
.LBB0_26:
	v_or_b32_e32 v0, s33, v43
	s_cmp_lg_u64 s[12:13], 0
	s_cselect_b32 s2, -1, 0
	s_delay_alu instid0(VALU_DEP_1) | instskip(SKIP_1) | instid1(SALU_CYCLE_1)
	v_cmp_eq_u32_e32 vcc_lo, 0, v0
	s_and_b32 s3, vcc_lo, s2
	s_and_saveexec_b32 s2, s3
	s_cbranch_execz .LBB0_28
; %bb.27:
	v_dual_mov_b32 v0, s29 :: v_dual_max_num_f32 v2, v10, v10
	global_load_b32 v0, v0, s[12:13] scale_offset
	s_wait_loadcnt 0x0
	v_max_num_f32_e32 v3, v0, v0
	s_delay_alu instid0(VALU_DEP_1) | instskip(NEXT) | instid1(VALU_DEP_1)
	v_max_num_f32_e32 v4, v2, v3
	v_sub_f32_e32 v2, v10, v4
	s_delay_alu instid0(VALU_DEP_1) | instskip(SKIP_2) | instid1(VALU_DEP_3)
	v_dual_mul_f32 v3, 0x3fb8aa3b, v2 :: v_dual_sub_f32 v0, v0, v4
	v_cmp_ngt_f32_e32 vcc_lo, 0xc2ce8ed0, v2
	v_mov_b32_e32 v10, v4
	v_fma_f32 v6, 0x3fb8aa3b, v2, -v3
	s_delay_alu instid0(VALU_DEP_4) | instskip(SKIP_1) | instid1(VALU_DEP_3)
	v_mul_f32_e32 v5, 0x3fb8aa3b, v0
	v_rndne_f32_e32 v7, v3
	v_fmac_f32_e32 v6, 0x32a5705f, v2
	s_delay_alu instid0(VALU_DEP_3) | instskip(SKIP_1) | instid1(VALU_DEP_2)
	v_fma_f32 v8, 0x3fb8aa3b, v0, -v5
	v_rndne_f32_e32 v9, v5
	v_dual_sub_f32 v3, v3, v7 :: v_dual_fmac_f32 v8, 0x32a5705f, v0
	s_delay_alu instid0(VALU_DEP_1) | instskip(SKIP_2) | instid1(VALU_DEP_3)
	v_dual_sub_f32 v5, v5, v9 :: v_dual_add_f32 v3, v3, v6
	v_cvt_i32_f32_e32 v6, v7
	v_cvt_i32_f32_e32 v7, v9
	v_exp_f32_e32 v3, v3
	v_nop
	s_delay_alu instid0(TRANS32_DEP_1) | instskip(NEXT) | instid1(VALU_DEP_1)
	v_ldexp_f32 v3, v3, v6
	v_dual_add_f32 v5, v5, v8 :: v_dual_cndmask_b32 v3, 0, v3, vcc_lo
	s_delay_alu instid0(VALU_DEP_1) | instskip(SKIP_1) | instid1(TRANS32_DEP_1)
	v_exp_f32_e32 v5, v5
	v_cmp_ngt_f32_e32 vcc_lo, 0xc2ce8ed0, v0
	v_ldexp_f32 v5, v5, v7
	s_delay_alu instid0(VALU_DEP_1) | instskip(SKIP_3) | instid1(VALU_DEP_4)
	v_cndmask_b32_e32 v5, 0, v5, vcc_lo
	v_cmp_nlt_f32_e32 vcc_lo, 0x42b17218, v2
	v_cndmask_b32_e32 v2, 0x7f800000, v3, vcc_lo
	v_cmp_nlt_f32_e32 vcc_lo, 0x42b17218, v0
	v_cndmask_b32_e32 v0, 0x7f800000, v5, vcc_lo
	v_cmp_eq_u32_e32 vcc_lo, 0, v45
	s_delay_alu instid0(VALU_DEP_2) | instskip(NEXT) | instid1(VALU_DEP_1)
	v_cndmask_b32_e32 v0, 0, v0, vcc_lo
	v_fmac_f32_e32 v0, v47, v2
	s_delay_alu instid0(VALU_DEP_1) | instskip(SKIP_1) | instid1(VALU_DEP_1)
	v_mov_b32_e32 v47, v0
	v_cvt_f16_f32_e32 v3, v2
	v_and_b32_e32 v3, 0xffff, v3
	s_delay_alu instid0(VALU_DEP_1) | instskip(NEXT) | instid1(VALU_DEP_1)
	v_mul_u32_u24_e32 v5, 0x10001, v3
	v_pk_mul_f16 v49, v49, v5
	v_pk_mul_f16 v3, v50, v5
	;; [unrolled: 1-line block ×4, first 2 shown]
.LBB0_28:
	s_or_b32 exec_lo, exec_lo, s2
	s_delay_alu instid0(SALU_CYCLE_1)
	s_mov_b32 s2, exec_lo
	v_cmpx_eq_u32_e32 0, v43
; %bb.29:
	v_mov_b32_e32 v0, 0xfeffffff
	v_dual_mov_b32 v4, 0 :: v_dual_add_nc_u32 v5, 0x800, v41
	ds_store_2addr_b32 v5, v0, v4 offset1:32
; %bb.30:
	s_or_b32 exec_lo, exec_lo, s2
	v_cmp_eq_u32_e32 vcc_lo, 0, v45
	s_wait_loadcnt 0x0
	v_lshlrev_b32_e32 v9, 2, v43
	s_wait_dscnt 0x0
	s_barrier_signal -1
	s_barrier_wait -1
	s_and_saveexec_b32 s2, vcc_lo
; %bb.31:
	ds_store_b32 v9, v10 offset:2048
; %bb.32:
	s_or_b32 exec_lo, exec_lo, s2
	s_wait_dscnt 0x0
	s_barrier_signal -1
	s_barrier_wait -1
	ds_load_b32 v0, v41 offset:2048
	v_xor_b32_e32 v5, 8, v44
	v_xor_b32_e32 v4, 16, v44
	s_delay_alu instid0(VALU_DEP_1) | instskip(NEXT) | instid1(VALU_DEP_1)
	v_cmp_gt_i32_e64 s2, 32, v4
	v_cndmask_b32_e64 v4, v44, v4, s2
	s_delay_alu instid0(VALU_DEP_1)
	v_lshlrev_b32_e32 v8, 2, v4
	s_wait_dscnt 0x0
	ds_bpermute_b32 v4, v8, v0
	v_max_num_f32_e32 v0, v0, v0
	s_wait_dscnt 0x0
	v_max_num_f32_e32 v6, v4, v4
	s_delay_alu instid0(VALU_DEP_1) | instskip(SKIP_1) | instid1(VALU_DEP_1)
	v_max_num_f32_e32 v0, v0, v6
	v_cmp_gt_i32_e64 s2, 32, v5
	v_cndmask_b32_e64 v5, v44, v5, s2
	s_delay_alu instid0(VALU_DEP_1) | instskip(SKIP_3) | instid1(VALU_DEP_1)
	v_lshlrev_b32_e32 v4, 2, v5
	ds_bpermute_b32 v5, v4, v0
	s_wait_dscnt 0x0
	v_dual_max_num_f32 v7, v5, v5 :: v_dual_bitop2_b32 v6, 4, v44 bitop3:0x14
	v_cmp_gt_i32_e64 s2, 32, v6
	s_delay_alu instid0(VALU_DEP_2) | instskip(NEXT) | instid1(VALU_DEP_2)
	v_max_num_f32_e32 v0, v0, v7
	v_cndmask_b32_e64 v6, v44, v6, s2
	s_delay_alu instid0(VALU_DEP_1) | instskip(SKIP_3) | instid1(VALU_DEP_1)
	v_lshlrev_b32_e32 v5, 2, v6
	ds_bpermute_b32 v6, v5, v0
	s_wait_dscnt 0x0
	v_dual_max_num_f32 v11, v6, v6 :: v_dual_bitop2_b32 v7, 2, v44 bitop3:0x14
	v_cmp_gt_i32_e64 s2, 32, v7
	s_delay_alu instid0(VALU_DEP_2) | instskip(NEXT) | instid1(VALU_DEP_2)
	v_max_num_f32_e32 v0, v0, v11
	v_dual_cndmask_b32 v7, v44, v7, s2 :: v_dual_bitop2_b32 v11, 1, v44 bitop3:0x14
	s_delay_alu instid0(VALU_DEP_1) | instskip(NEXT) | instid1(VALU_DEP_2)
	v_lshlrev_b32_e32 v6, 2, v7
	v_cmp_gt_i32_e64 s2, 32, v11
	ds_bpermute_b32 v7, v6, v0
	v_cndmask_b32_e64 v11, v44, v11, s2
	s_wait_dscnt 0x0
	v_max_num_f32_e32 v12, v7, v7
	s_delay_alu instid0(VALU_DEP_1) | instskip(SKIP_3) | instid1(VALU_DEP_1)
	v_dual_max_num_f32 v0, v0, v12 :: v_dual_lshlrev_b32 v7, 2, v11
	ds_bpermute_b32 v11, v7, v0
	s_wait_dscnt 0x0
	v_max_num_f32_e32 v11, v11, v11
	v_max_num_f32_e32 v0, v0, v11
	s_delay_alu instid0(VALU_DEP_1) | instskip(NEXT) | instid1(VALU_DEP_1)
	v_sub_f32_e32 v10, v10, v0
	v_mul_f32_e32 v11, 0x3fb8aa3b, v10
	v_cmp_ngt_f32_e64 s2, 0xc2ce8ed0, v10
	s_delay_alu instid0(VALU_DEP_2) | instskip(SKIP_1) | instid1(VALU_DEP_1)
	v_fma_f32 v12, 0x3fb8aa3b, v10, -v11
	v_rndne_f32_e32 v13, v11
	v_dual_fmamk_f32 v12, v10, 0x32a5705f, v12 :: v_dual_sub_f32 v11, v11, v13
	s_delay_alu instid0(VALU_DEP_1) | instskip(SKIP_1) | instid1(VALU_DEP_2)
	v_add_f32_e32 v11, v11, v12
	v_cvt_i32_f32_e32 v12, v13
	v_exp_f32_e32 v11, v11
	v_nop
	s_delay_alu instid0(TRANS32_DEP_1) | instskip(NEXT) | instid1(VALU_DEP_1)
	v_ldexp_f32 v11, v11, v12
	v_cndmask_b32_e64 v11, 0, v11, s2
	v_cmp_nlt_f32_e64 s2, 0x42b17218, v10
	s_delay_alu instid0(VALU_DEP_1) | instskip(NEXT) | instid1(VALU_DEP_1)
	v_cndmask_b32_e64 v10, 0x7f800000, v11, s2
	v_mul_f32_e32 v11, v47, v10
	ds_bpermute_b32 v11, v8, v11
	s_wait_dscnt 0x0
	v_fmac_f32_e32 v11, v47, v10
	v_cvt_f16_f32_e32 v10, v10
	ds_bpermute_b32 v12, v4, v11
	v_and_b32_e32 v10, 0xffff, v10
	s_delay_alu instid0(VALU_DEP_1) | instskip(NEXT) | instid1(VALU_DEP_1)
	v_mul_u32_u24_e32 v10, 0x10001, v10
	v_pk_mul_f16 v15, v3, v10
	v_pk_mul_f16 v2, v2, v10
	;; [unrolled: 1-line block ×4, first 2 shown]
	s_wait_dscnt 0x0
	v_add_f32_e32 v11, v11, v12
	ds_bpermute_b32 v12, v5, v11
	s_wait_dscnt 0x0
	v_add_f32_e32 v11, v11, v12
	ds_bpermute_b32 v12, v6, v11
	s_wait_dscnt 0x0
	v_add_f32_e32 v11, v11, v12
	v_and_b32_e32 v12, 0x1e0, v41
	ds_bpermute_b32 v13, v7, v11
	v_lshlrev_b32_e32 v12, 2, v12
	s_delay_alu instid0(VALU_DEP_1) | instskip(NEXT) | instid1(VALU_DEP_1)
	v_lshl_add_u32 v12, v43, 9, v12
	v_lshl_or_b32 v12, v42, 2, v12
	ds_store_2addr_b32 v12, v15, v2 offset0:1 offset1:2
	ds_store_2addr_b32 v12, v14, v10 offset1:3
	s_wait_dscnt 0x2
	v_add_f32_e32 v3, v11, v13
	s_and_saveexec_b32 s2, vcc_lo
; %bb.33:
	ds_store_b32 v9, v3 offset:2176
; %bb.34:
	s_or_b32 exec_lo, exec_lo, s2
	s_wait_dscnt 0x0
	s_barrier_signal -1
	s_barrier_wait -1
	s_load_b32 s1, s[0:1], 0xd4
	s_wait_xcnt 0x0
	s_mul_i32 s0, s26, s24
	s_mov_b32 s2, exec_lo
	s_add_co_i32 s0, s0, s38
	s_delay_alu instid0(SALU_CYCLE_1) | instskip(NEXT) | instid1(SALU_CYCLE_1)
	s_mul_i32 s0, s0, s25
	s_add_co_i32 s0, s0, s29
	s_wait_kmcnt 0x0
	s_mul_i32 s0, s1, s0
	v_cmpx_gt_u32_e32 64, v1
	s_cbranch_execz .LBB0_36
; %bb.35:
	ds_load_u16 v2, v40
	ds_load_u16 v3, v40 offset:128
	ds_load_u16 v9, v40 offset:256
	;; [unrolled: 1-line block ×6, first 2 shown]
	s_add_co_i32 s3, s0, s33
	s_cmp_eq_u32 s1, 1
	s_wait_dscnt 0x6
	v_cvt_f32_f16_e32 v2, v2
	s_wait_dscnt 0x5
	v_cvt_f32_f16_e32 v3, v3
	;; [unrolled: 2-line block ×5, first 2 shown]
	v_add_f32_e32 v2, 0, v2
	s_wait_dscnt 0x1
	v_cvt_f32_f16_e32 v12, v12
	s_wait_dscnt 0x0
	v_cvt_f32_f16_e32 v13, v13
	v_add_f32_e32 v2, v2, v3
	s_delay_alu instid0(VALU_DEP_1)
	v_add_f32_e32 v2, v2, v9
	ds_load_u16 v9, v40 offset:896
	ds_load_b32 v3, v41 offset:2176
	v_add_f32_e32 v2, v2, v10
	ds_load_u16 v10, v40 offset:1024
	v_add_f32_e32 v2, v2, v11
	ds_load_u16 v11, v40 offset:1152
	;; [unrolled: 2-line block ×3, first 2 shown]
	ds_load_u16 v14, v40 offset:1408
	ds_load_u16 v15, v40 offset:1536
	;; [unrolled: 1-line block ×4, first 2 shown]
	s_wait_dscnt 0x8
	v_cvt_f32_f16_e32 v18, v9
	v_add_f32_e32 v2, v2, v13
	s_wait_dscnt 0x7
	ds_bpermute_b32 v9, v8, v3
	s_wait_dscnt 0x7
	v_cvt_f32_f16_e32 v8, v10
	v_add_f32_e32 v2, v2, v18
	s_wait_dscnt 0x6
	v_cvt_f32_f16_e32 v10, v11
	s_delay_alu instid0(VALU_DEP_2)
	v_add_f32_e32 v2, v2, v8
	s_wait_dscnt 0x5
	v_cvt_f32_f16_e32 v11, v12
	s_wait_dscnt 0x4
	v_cvt_f32_f16_e32 v8, v14
	v_add_f32_e32 v2, v2, v10
	s_delay_alu instid0(VALU_DEP_1) | instskip(SKIP_1) | instid1(VALU_DEP_1)
	v_add_f32_e32 v2, v2, v11
	s_wait_dscnt 0x0
	v_pk_add_f32 v[2:3], v[2:3], v[8:9]
	v_cvt_f32_f16_e32 v8, v15
	ds_bpermute_b32 v9, v4, v3
	v_cvt_f32_f16_e32 v4, v16
	s_wait_dscnt 0x0
	v_pk_add_f32 v[2:3], v[2:3], v[8:9]
	ds_bpermute_b32 v5, v5, v3
	s_wait_dscnt 0x0
	v_pk_add_f32 v[2:3], v[2:3], v[4:5]
	v_cvt_f32_f16_e32 v4, v17
	ds_bpermute_b32 v5, v6, v3
	ds_load_u16 v6, v40 offset:1920
	s_wait_dscnt 0x1
	v_pk_add_f32 v[2:3], v[2:3], v[4:5]
	s_wait_dscnt 0x0
	v_cvt_f32_f16_e32 v4, v6
	ds_bpermute_b32 v5, v7, v3
	s_wait_dscnt 0x0
	v_pk_add_f32 v[2:3], v[2:3], v[4:5]
	s_delay_alu instid0(VALU_DEP_1) | instskip(NEXT) | instid1(VALU_DEP_1)
	v_div_scale_f32 v4, null, v3, v3, v2
	v_rcp_f32_e32 v5, v4
	v_nop
	s_delay_alu instid0(TRANS32_DEP_1) | instskip(NEXT) | instid1(VALU_DEP_1)
	v_fma_f32 v6, -v4, v5, 1.0
	v_fmac_f32_e32 v5, v6, v5
	v_div_scale_f32 v6, vcc_lo, v2, v3, v2
	s_delay_alu instid0(VALU_DEP_1) | instskip(NEXT) | instid1(VALU_DEP_1)
	v_mul_f32_e32 v7, v6, v5
	v_fma_f32 v8, -v4, v7, v6
	s_delay_alu instid0(VALU_DEP_1) | instskip(NEXT) | instid1(VALU_DEP_1)
	v_fmac_f32_e32 v7, v8, v5
	v_fma_f32 v4, -v4, v7, v6
	s_delay_alu instid0(VALU_DEP_1) | instskip(SKIP_2) | instid1(VALU_DEP_2)
	v_div_fmas_f32 v4, v4, v5, v7
	s_cselect_b32 vcc_lo, -1, 0
	v_lshl_or_b32 v5, s3, 6, v1
	v_div_fixup_f32 v4, v4, v3, v2
	s_delay_alu instid0(VALU_DEP_1)
	v_cndmask_b32_e32 v2, v2, v4, vcc_lo
	global_store_b32 v5, v2, s[16:17] scale_offset
.LBB0_36:
	s_wait_xcnt 0x0
	s_or_b32 exec_lo, exec_lo, s2
	v_cmp_eq_u32_e32 vcc_lo, 0, v1
	s_cmp_lg_u32 s1, 1
	s_cselect_b32 s1, -1, 0
	s_delay_alu instid0(SALU_CYCLE_1) | instskip(NEXT) | instid1(SALU_CYCLE_1)
	s_and_b32 s1, vcc_lo, s1
	s_and_saveexec_b32 s2, s1
	s_cbranch_execz .LBB0_38
; %bb.37:
	s_add_co_i32 s0, s0, s33
	s_delay_alu instid0(SALU_CYCLE_1)
	v_dual_mov_b32 v1, v3 :: v_dual_mov_b32 v2, s0
	global_store_b64 v2, v[0:1], s[18:19] scale_offset
.LBB0_38:
	s_sendmsg sendmsg(MSG_DEALLOC_VGPRS)
	s_endpgm
	.section	.rodata,"a",@progbits
	.p2align	6, 0x0
	.amdhsa_kernel _ZL18flash_attn_ext_vecILi64ELi1EL9ggml_type1ELS0_1ELb0EEvPKcS2_S2_S2_S2_PKiPfP15HIP_vector_typeIfLj2EEffffjfiS6_IjLj3EEiiiiiiiiiiiliiliiiiil
		.amdhsa_group_segment_fixed_size 2304
		.amdhsa_private_segment_fixed_size 0
		.amdhsa_kernarg_size 464
		.amdhsa_user_sgpr_count 2
		.amdhsa_user_sgpr_dispatch_ptr 0
		.amdhsa_user_sgpr_queue_ptr 0
		.amdhsa_user_sgpr_kernarg_segment_ptr 1
		.amdhsa_user_sgpr_dispatch_id 0
		.amdhsa_user_sgpr_kernarg_preload_length 0
		.amdhsa_user_sgpr_kernarg_preload_offset 0
		.amdhsa_user_sgpr_private_segment_size 0
		.amdhsa_wavefront_size32 1
		.amdhsa_uses_dynamic_stack 0
		.amdhsa_enable_private_segment 0
		.amdhsa_system_sgpr_workgroup_id_x 1
		.amdhsa_system_sgpr_workgroup_id_y 1
		.amdhsa_system_sgpr_workgroup_id_z 1
		.amdhsa_system_sgpr_workgroup_info 0
		.amdhsa_system_vgpr_workitem_id 1
		.amdhsa_next_free_vgpr 104
		.amdhsa_next_free_sgpr 44
		.amdhsa_named_barrier_count 0
		.amdhsa_reserve_vcc 1
		.amdhsa_float_round_mode_32 0
		.amdhsa_float_round_mode_16_64 0
		.amdhsa_float_denorm_mode_32 3
		.amdhsa_float_denorm_mode_16_64 3
		.amdhsa_fp16_overflow 0
		.amdhsa_memory_ordered 1
		.amdhsa_forward_progress 1
		.amdhsa_inst_pref_size 55
		.amdhsa_round_robin_scheduling 0
		.amdhsa_exception_fp_ieee_invalid_op 0
		.amdhsa_exception_fp_denorm_src 0
		.amdhsa_exception_fp_ieee_div_zero 0
		.amdhsa_exception_fp_ieee_overflow 0
		.amdhsa_exception_fp_ieee_underflow 0
		.amdhsa_exception_fp_ieee_inexact 0
		.amdhsa_exception_int_div_zero 0
	.end_amdhsa_kernel
	.section	.text._ZL18flash_attn_ext_vecILi64ELi1EL9ggml_type1ELS0_1ELb0EEvPKcS2_S2_S2_S2_PKiPfP15HIP_vector_typeIfLj2EEffffjfiS6_IjLj3EEiiiiiiiiiiiliiliiiiil,"axG",@progbits,_ZL18flash_attn_ext_vecILi64ELi1EL9ggml_type1ELS0_1ELb0EEvPKcS2_S2_S2_S2_PKiPfP15HIP_vector_typeIfLj2EEffffjfiS6_IjLj3EEiiiiiiiiiiiliiliiiiil,comdat
.Lfunc_end0:
	.size	_ZL18flash_attn_ext_vecILi64ELi1EL9ggml_type1ELS0_1ELb0EEvPKcS2_S2_S2_S2_PKiPfP15HIP_vector_typeIfLj2EEffffjfiS6_IjLj3EEiiiiiiiiiiiliiliiiiil, .Lfunc_end0-_ZL18flash_attn_ext_vecILi64ELi1EL9ggml_type1ELS0_1ELb0EEvPKcS2_S2_S2_S2_PKiPfP15HIP_vector_typeIfLj2EEffffjfiS6_IjLj3EEiiiiiiiiiiiliiliiiiil
                                        ; -- End function
	.set _ZL18flash_attn_ext_vecILi64ELi1EL9ggml_type1ELS0_1ELb0EEvPKcS2_S2_S2_S2_PKiPfP15HIP_vector_typeIfLj2EEffffjfiS6_IjLj3EEiiiiiiiiiiiliiliiiiil.num_vgpr, 104
	.set _ZL18flash_attn_ext_vecILi64ELi1EL9ggml_type1ELS0_1ELb0EEvPKcS2_S2_S2_S2_PKiPfP15HIP_vector_typeIfLj2EEffffjfiS6_IjLj3EEiiiiiiiiiiiliiliiiiil.num_agpr, 0
	.set _ZL18flash_attn_ext_vecILi64ELi1EL9ggml_type1ELS0_1ELb0EEvPKcS2_S2_S2_S2_PKiPfP15HIP_vector_typeIfLj2EEffffjfiS6_IjLj3EEiiiiiiiiiiiliiliiiiil.numbered_sgpr, 44
	.set _ZL18flash_attn_ext_vecILi64ELi1EL9ggml_type1ELS0_1ELb0EEvPKcS2_S2_S2_S2_PKiPfP15HIP_vector_typeIfLj2EEffffjfiS6_IjLj3EEiiiiiiiiiiiliiliiiiil.num_named_barrier, 0
	.set _ZL18flash_attn_ext_vecILi64ELi1EL9ggml_type1ELS0_1ELb0EEvPKcS2_S2_S2_S2_PKiPfP15HIP_vector_typeIfLj2EEffffjfiS6_IjLj3EEiiiiiiiiiiiliiliiiiil.private_seg_size, 0
	.set _ZL18flash_attn_ext_vecILi64ELi1EL9ggml_type1ELS0_1ELb0EEvPKcS2_S2_S2_S2_PKiPfP15HIP_vector_typeIfLj2EEffffjfiS6_IjLj3EEiiiiiiiiiiiliiliiiiil.uses_vcc, 1
	.set _ZL18flash_attn_ext_vecILi64ELi1EL9ggml_type1ELS0_1ELb0EEvPKcS2_S2_S2_S2_PKiPfP15HIP_vector_typeIfLj2EEffffjfiS6_IjLj3EEiiiiiiiiiiiliiliiiiil.uses_flat_scratch, 0
	.set _ZL18flash_attn_ext_vecILi64ELi1EL9ggml_type1ELS0_1ELb0EEvPKcS2_S2_S2_S2_PKiPfP15HIP_vector_typeIfLj2EEffffjfiS6_IjLj3EEiiiiiiiiiiiliiliiiiil.has_dyn_sized_stack, 0
	.set _ZL18flash_attn_ext_vecILi64ELi1EL9ggml_type1ELS0_1ELb0EEvPKcS2_S2_S2_S2_PKiPfP15HIP_vector_typeIfLj2EEffffjfiS6_IjLj3EEiiiiiiiiiiiliiliiiiil.has_recursion, 0
	.set _ZL18flash_attn_ext_vecILi64ELi1EL9ggml_type1ELS0_1ELb0EEvPKcS2_S2_S2_S2_PKiPfP15HIP_vector_typeIfLj2EEffffjfiS6_IjLj3EEiiiiiiiiiiiliiliiiiil.has_indirect_call, 0
	.section	.AMDGPU.csdata,"",@progbits
; Kernel info:
; codeLenInByte = 6976
; TotalNumSgprs: 46
; NumVgprs: 104
; ScratchSize: 0
; MemoryBound: 0
; FloatMode: 240
; IeeeMode: 1
; LDSByteSize: 2304 bytes/workgroup (compile time only)
; SGPRBlocks: 0
; VGPRBlocks: 6
; NumSGPRsForWavesPerEU: 46
; NumVGPRsForWavesPerEU: 104
; NamedBarCnt: 0
; Occupancy: 9
; WaveLimiterHint : 1
; COMPUTE_PGM_RSRC2:SCRATCH_EN: 0
; COMPUTE_PGM_RSRC2:USER_SGPR: 2
; COMPUTE_PGM_RSRC2:TRAP_HANDLER: 0
; COMPUTE_PGM_RSRC2:TGID_X_EN: 1
; COMPUTE_PGM_RSRC2:TGID_Y_EN: 1
; COMPUTE_PGM_RSRC2:TGID_Z_EN: 1
; COMPUTE_PGM_RSRC2:TIDIG_COMP_CNT: 1
	.section	.text._ZL25flash_attn_mask_to_KV_maxILi1EEvPK7__half2Piiii,"axG",@progbits,_ZL25flash_attn_mask_to_KV_maxILi1EEvPK7__half2Piiii,comdat
	.globl	_ZL25flash_attn_mask_to_KV_maxILi1EEvPK7__half2Piiii ; -- Begin function _ZL25flash_attn_mask_to_KV_maxILi1EEvPK7__half2Piiii
	.p2align	8
	.type	_ZL25flash_attn_mask_to_KV_maxILi1EEvPK7__half2Piiii,@function
_ZL25flash_attn_mask_to_KV_maxILi1EEvPK7__half2Piiii: ; @_ZL25flash_attn_mask_to_KV_maxILi1EEvPK7__half2Piiii
; %bb.0:
	s_load_b128 s[4:7], s[0:1], 0x0
	s_mov_b32 s2, exec_lo
	v_cmpx_gt_u32_e32 32, v0
; %bb.1:
	v_dual_mov_b32 v2, 1 :: v_dual_lshlrev_b32 v1, 2, v0
	ds_store_b32 v1, v2
; %bb.2:
	s_or_b32 exec_lo, exec_lo, s2
	s_clause 0x1
	s_load_b96 s[8:10], s[0:1], 0x10
	s_load_b32 s11, s[0:1], 0x20
	s_wait_xcnt 0x0
	s_bfe_u32 s1, ttmp6, 0x4000c
	s_bfe_u32 s2, ttmp6, 0x40010
	s_add_co_i32 s1, s1, 1
	s_add_co_i32 s2, s2, 1
	s_and_b32 s0, ttmp6, 15
	s_bfe_u32 s3, ttmp6, 0x40004
	s_mul_i32 s1, ttmp9, s1
	s_mul_i32 s2, ttmp7, s2
	s_getreg_b32 s12, hwreg(HW_REG_IB_STS2, 6, 4)
	s_add_co_i32 s0, s0, s1
	s_add_co_i32 s3, s3, s2
	s_cmp_eq_u32 s12, 0
	v_dual_lshrrev_b32 v1, 3, v0 :: v_dual_bitop2_b32 v2, 31, v0 bitop3:0x40
	s_cselect_b32 s1, ttmp7, s3
	s_cselect_b32 s12, ttmp9, s0
	s_wait_dscnt 0x0
	s_barrier_signal -1
	s_wait_kmcnt 0x0
	s_mul_i32 s0, s10, s1
	s_mul_i32 s2, s9, s12
	s_barrier_wait -1
	s_add_co_i32 s2, s0, s2
	v_cmp_eq_u32_e64 s0, 0, v2
	s_ashr_i32 s3, s2, 31
	v_lshlrev_b32_e32 v2, 2, v2
	s_lshl_b64 s[2:3], s[2:3], 2
	s_delay_alu instid0(SALU_CYCLE_1)
	s_add_nc_u64 s[2:3], s[4:5], s[2:3]
	s_lshl_b32 s5, s8, 8
	s_branch .LBB1_4
.LBB1_3:                                ;   in Loop: Header=BB1_4 Depth=1
	s_or_b32 exec_lo, exec_lo, s9
	s_wait_dscnt 0x0
	s_barrier_signal -1
	s_barrier_wait -1
	ds_load_b32 v3, v2
	s_wait_dscnt 0x0
	s_barrier_signal -1
	s_barrier_wait -1
	v_cmp_ne_u32_e32 vcc_lo, 0, v3
	s_cmp_lg_u32 vcc_lo, exec_lo
	s_cselect_b32 s8, -1, 0
	s_delay_alu instid0(SALU_CYCLE_1)
	s_and_b32 vcc_lo, exec_lo, s8
	s_cbranch_vccnz .LBB1_8
.LBB1_4:                                ; =>This Inner Loop Header: Depth=1
	s_mov_b32 s4, s5
	s_addk_co_i32 s5, 0xff00
	s_delay_alu instid0(SALU_CYCLE_1)
	s_cmp_lt_i32 s5, 0
	s_cbranch_scc1 .LBB1_7
; %bb.5:                                ;   in Loop: Header=BB1_4 Depth=1
	s_lshr_b32 s9, s5, 1
	s_mov_b32 s8, exec_lo
	v_add_nc_u32_e32 v3, s9, v0
	global_load_b32 v3, v3, s[2:3] scale_offset
	s_wait_loadcnt 0x0
	v_lshrrev_b32_e32 v4, 16, v3
	v_cmp_class_f16_e64 s9, v3, 0x204
	s_delay_alu instid0(VALU_DEP_2) | instskip(SKIP_1) | instid1(SALU_CYCLE_1)
	v_cmp_class_f16_e64 s10, v4, 0x204
	s_and_b32 s9, s9, s10
	v_cndmask_b32_e64 v3, 0, 1, s9
	s_delay_alu instid0(VALU_DEP_1)
	v_cmp_ne_u32_e32 vcc_lo, 0, v3
	s_and_saveexec_b32 s9, s0
	s_cbranch_execz .LBB1_3
; %bb.6:                                ;   in Loop: Header=BB1_4 Depth=1
	s_cmp_eq_u32 vcc_lo, s8
	s_cselect_b32 s8, -1, 0
	s_delay_alu instid0(SALU_CYCLE_1)
	v_cndmask_b32_e64 v3, 0, 1, s8
	ds_store_b32 v1, v3
	s_branch .LBB1_3
.LBB1_7:                                ;   in Loop: Header=BB1_4 Depth=1
	s_cbranch_execz .LBB1_4
.LBB1_8:
	s_mov_b32 s0, exec_lo
	v_cmpx_eq_u32_e32 0, v0
	s_cbranch_execz .LBB1_10
; %bb.9:
	s_mul_i32 s0, s11, s1
	v_mov_b32_e32 v1, s4
	s_add_co_i32 s0, s0, s12
	s_delay_alu instid0(SALU_CYCLE_1)
	v_mov_b32_e32 v0, s0
	global_store_b32 v0, v1, s[6:7] scale_offset
.LBB1_10:
	s_endpgm
	.section	.rodata,"a",@progbits
	.p2align	6, 0x0
	.amdhsa_kernel _ZL25flash_attn_mask_to_KV_maxILi1EEvPK7__half2Piiii
		.amdhsa_group_segment_fixed_size 128
		.amdhsa_private_segment_fixed_size 0
		.amdhsa_kernarg_size 288
		.amdhsa_user_sgpr_count 2
		.amdhsa_user_sgpr_dispatch_ptr 0
		.amdhsa_user_sgpr_queue_ptr 0
		.amdhsa_user_sgpr_kernarg_segment_ptr 1
		.amdhsa_user_sgpr_dispatch_id 0
		.amdhsa_user_sgpr_kernarg_preload_length 0
		.amdhsa_user_sgpr_kernarg_preload_offset 0
		.amdhsa_user_sgpr_private_segment_size 0
		.amdhsa_wavefront_size32 1
		.amdhsa_uses_dynamic_stack 0
		.amdhsa_enable_private_segment 0
		.amdhsa_system_sgpr_workgroup_id_x 1
		.amdhsa_system_sgpr_workgroup_id_y 1
		.amdhsa_system_sgpr_workgroup_id_z 0
		.amdhsa_system_sgpr_workgroup_info 0
		.amdhsa_system_vgpr_workitem_id 0
		.amdhsa_next_free_vgpr 5
		.amdhsa_next_free_sgpr 13
		.amdhsa_named_barrier_count 0
		.amdhsa_reserve_vcc 1
		.amdhsa_float_round_mode_32 0
		.amdhsa_float_round_mode_16_64 0
		.amdhsa_float_denorm_mode_32 3
		.amdhsa_float_denorm_mode_16_64 3
		.amdhsa_fp16_overflow 0
		.amdhsa_memory_ordered 1
		.amdhsa_forward_progress 1
		.amdhsa_inst_pref_size 4
		.amdhsa_round_robin_scheduling 0
		.amdhsa_exception_fp_ieee_invalid_op 0
		.amdhsa_exception_fp_denorm_src 0
		.amdhsa_exception_fp_ieee_div_zero 0
		.amdhsa_exception_fp_ieee_overflow 0
		.amdhsa_exception_fp_ieee_underflow 0
		.amdhsa_exception_fp_ieee_inexact 0
		.amdhsa_exception_int_div_zero 0
	.end_amdhsa_kernel
	.section	.text._ZL25flash_attn_mask_to_KV_maxILi1EEvPK7__half2Piiii,"axG",@progbits,_ZL25flash_attn_mask_to_KV_maxILi1EEvPK7__half2Piiii,comdat
.Lfunc_end1:
	.size	_ZL25flash_attn_mask_to_KV_maxILi1EEvPK7__half2Piiii, .Lfunc_end1-_ZL25flash_attn_mask_to_KV_maxILi1EEvPK7__half2Piiii
                                        ; -- End function
	.set _ZL25flash_attn_mask_to_KV_maxILi1EEvPK7__half2Piiii.num_vgpr, 5
	.set _ZL25flash_attn_mask_to_KV_maxILi1EEvPK7__half2Piiii.num_agpr, 0
	.set _ZL25flash_attn_mask_to_KV_maxILi1EEvPK7__half2Piiii.numbered_sgpr, 13
	.set _ZL25flash_attn_mask_to_KV_maxILi1EEvPK7__half2Piiii.num_named_barrier, 0
	.set _ZL25flash_attn_mask_to_KV_maxILi1EEvPK7__half2Piiii.private_seg_size, 0
	.set _ZL25flash_attn_mask_to_KV_maxILi1EEvPK7__half2Piiii.uses_vcc, 1
	.set _ZL25flash_attn_mask_to_KV_maxILi1EEvPK7__half2Piiii.uses_flat_scratch, 0
	.set _ZL25flash_attn_mask_to_KV_maxILi1EEvPK7__half2Piiii.has_dyn_sized_stack, 0
	.set _ZL25flash_attn_mask_to_KV_maxILi1EEvPK7__half2Piiii.has_recursion, 0
	.set _ZL25flash_attn_mask_to_KV_maxILi1EEvPK7__half2Piiii.has_indirect_call, 0
	.section	.AMDGPU.csdata,"",@progbits
; Kernel info:
; codeLenInByte = 456
; TotalNumSgprs: 15
; NumVgprs: 5
; ScratchSize: 0
; MemoryBound: 0
; FloatMode: 240
; IeeeMode: 1
; LDSByteSize: 128 bytes/workgroup (compile time only)
; SGPRBlocks: 0
; VGPRBlocks: 0
; NumSGPRsForWavesPerEU: 15
; NumVGPRsForWavesPerEU: 5
; NamedBarCnt: 0
; Occupancy: 16
; WaveLimiterHint : 0
; COMPUTE_PGM_RSRC2:SCRATCH_EN: 0
; COMPUTE_PGM_RSRC2:USER_SGPR: 2
; COMPUTE_PGM_RSRC2:TRAP_HANDLER: 0
; COMPUTE_PGM_RSRC2:TGID_X_EN: 1
; COMPUTE_PGM_RSRC2:TGID_Y_EN: 1
; COMPUTE_PGM_RSRC2:TGID_Z_EN: 0
; COMPUTE_PGM_RSRC2:TIDIG_COMP_CNT: 0
	.section	.text._ZL33flash_attn_stream_k_fixup_uniformILi64ELi1ELi1EEvPfPK15HIP_vector_typeIfLj2EEiiiiiiS1_IjLj3EES5_S5_,"axG",@progbits,_ZL33flash_attn_stream_k_fixup_uniformILi64ELi1ELi1EEvPfPK15HIP_vector_typeIfLj2EEiiiiiiS1_IjLj3EES5_S5_,comdat
	.globl	_ZL33flash_attn_stream_k_fixup_uniformILi64ELi1ELi1EEvPfPK15HIP_vector_typeIfLj2EEiiiiiiS1_IjLj3EES5_S5_ ; -- Begin function _ZL33flash_attn_stream_k_fixup_uniformILi64ELi1ELi1EEvPfPK15HIP_vector_typeIfLj2EEiiiiiiS1_IjLj3EES5_S5_
	.p2align	8
	.type	_ZL33flash_attn_stream_k_fixup_uniformILi64ELi1ELi1EEvPfPK15HIP_vector_typeIfLj2EEiiiiiiS1_IjLj3EES5_S5_,@function
_ZL33flash_attn_stream_k_fixup_uniformILi64ELi1ELi1EEvPfPK15HIP_vector_typeIfLj2EEiiiiiiS1_IjLj3EES5_S5_: ; @_ZL33flash_attn_stream_k_fixup_uniformILi64ELi1ELi1EEvPfPK15HIP_vector_typeIfLj2EEiiiiiiS1_IjLj3EES5_S5_
; %bb.0:
	s_load_b256 s[4:11], s[0:1], 0x1c
	s_bfe_u32 s2, ttmp6, 0x40014
	s_lshr_b32 s3, ttmp7, 16
	s_add_co_i32 s2, s2, 1
	s_bfe_u32 s13, ttmp6, 0x40010
	s_mul_i32 s2, s3, s2
	s_bfe_u32 s12, ttmp6, 0x40008
	s_and_b32 s14, ttmp7, 0xffff
	s_add_co_i32 s13, s13, 1
	s_bfe_u32 s15, ttmp6, 0x4000c
	s_add_co_i32 s2, s12, s2
	s_mul_i32 s12, s14, s13
	s_bfe_u32 s13, ttmp6, 0x40004
	s_add_co_i32 s15, s15, 1
	s_add_co_i32 s13, s13, s12
	s_and_b32 s12, ttmp6, 15
	s_mul_i32 s15, ttmp9, s15
	s_getreg_b32 s20, hwreg(HW_REG_IB_STS2, 6, 4)
	s_add_co_i32 s12, s12, s15
	s_load_b128 s[16:19], s[0:1], 0x3c
	s_cmp_eq_u32 s20, 0
	s_cselect_b32 s12, ttmp9, s12
	s_cselect_b32 s13, s14, s13
	s_wait_kmcnt 0x0
	s_mul_hi_u32 s14, s7, s12
	s_cselect_b32 s7, s3, s2
	s_add_co_i32 s2, s12, s14
	s_delay_alu instid0(SALU_CYCLE_1) | instskip(NEXT) | instid1(SALU_CYCLE_1)
	s_lshr_b32 s14, s2, s8
	s_mul_i32 s2, s14, s9
	s_delay_alu instid0(SALU_CYCLE_1) | instskip(SKIP_2) | instid1(SALU_CYCLE_1)
	s_sub_co_i32 s8, s12, s2
	s_load_b64 s[2:3], s[0:1], 0x10
	s_mul_hi_u32 s9, s8, s10
	s_add_co_i32 s9, s8, s9
	s_delay_alu instid0(SALU_CYCLE_1) | instskip(NEXT) | instid1(SALU_CYCLE_1)
	s_lshr_b32 s15, s9, s11
	s_mul_i32 s9, s15, s16
	s_delay_alu instid0(SALU_CYCLE_1) | instskip(NEXT) | instid1(SALU_CYCLE_1)
	s_sub_co_i32 s8, s8, s9
	s_mul_hi_u32 s9, s8, s17
	s_delay_alu instid0(SALU_CYCLE_1) | instskip(NEXT) | instid1(SALU_CYCLE_1)
	s_add_co_i32 s9, s8, s9
	s_lshr_b32 s17, s9, s18
	s_delay_alu instid0(SALU_CYCLE_1) | instskip(NEXT) | instid1(SALU_CYCLE_1)
	s_mul_i32 s9, s17, s19
	s_sub_co_i32 s16, s8, s9
	s_delay_alu instid0(SALU_CYCLE_1) | instskip(SKIP_4) | instid1(SALU_CYCLE_1)
	s_add_co_i32 s16, s16, s13
	s_wait_kmcnt 0x0
	s_cmp_lt_i32 s16, s2
	s_cselect_b32 s8, -1, 0
	s_add_co_i32 s17, s17, s7
	s_cmp_lt_i32 s17, s5
	s_cselect_b32 s9, -1, 0
	s_delay_alu instid0(SALU_CYCLE_1) | instskip(NEXT) | instid1(SALU_CYCLE_1)
	s_and_b32 s8, s8, s9
	s_and_not1_b32 vcc_lo, exec_lo, s8
	s_cbranch_vccnz .LBB2_6
; %bb.1:
	s_load_b128 s[8:11], s[0:1], 0x0
	s_mul_i32 s14, s14, s2
	s_mul_i32 s15, s15, s5
	s_wait_xcnt 0x0
	s_add_co_i32 s0, s16, s14
	s_add_co_i32 s1, s17, s15
	s_mul_i32 s0, s0, s3
	s_mul_i32 s5, s6, s12
	s_add_co_i32 s1, s1, s0
	s_add_co_i32 s7, s13, s7
	v_lshl_or_b32 v4, s1, 6, v0
	s_add_co_i32 s6, s5, s6
	s_delay_alu instid0(SALU_CYCLE_1) | instskip(SKIP_4) | instid1(SALU_CYCLE_1)
	s_add_co_i32 s2, s7, s6
	s_add_co_i32 s12, s6, -2
	s_add_co_i32 s0, s2, -1
	v_ashrrev_i32_e32 v5, 31, v4
	s_ashr_i32 s1, s0, 31
	s_lshl_b64 s[0:1], s[0:1], 3
	s_cmp_lt_i32 s12, s5
	s_wait_kmcnt 0x0
	global_load_b32 v3, v4, s[8:9] scale_offset
	s_add_nc_u64 s[0:1], s[10:11], s[0:1]
	s_load_b32 s3, s[0:1], 0x4
	s_cbranch_scc1 .LBB2_4
; %bb.2:
	s_wait_xcnt 0x0
	s_load_b32 s0, s[0:1], 0x0
	v_lshl_or_b32 v0, s2, 6, v0
	s_lshl_b32 s12, s4, 2
	s_wait_kmcnt 0x0
	v_mov_b32_e32 v2, s3
	s_ashr_i32 s13, s12, 31
	s_add_co_i32 s1, s6, -1
	v_add_nc_u32_e32 v0, 0xffffff80, v0
	s_lshl_b64 s[12:13], s[12:13], 2
	s_add_co_i32 s4, s7, s4
	s_add_nc_u64 s[2:3], s[10:11], s[12:13]
.LBB2_3:                                ; =>This Inner Loop Header: Depth=1
	global_load_b32 v7, v0, s[2:3] scale_offset
	s_add_co_i32 s1, s1, -1
	v_max_num_f32_e64 v1, s0, s0
	s_add_co_i32 s6, s1, s4
	s_delay_alu instid0(SALU_CYCLE_1) | instskip(NEXT) | instid1(SALU_CYCLE_1)
	s_ashr_i32 s7, s6, 31
	s_lshl_b64 s[6:7], s[6:7], 3
	s_delay_alu instid0(VALU_DEP_1)
	v_readfirstlane_b32 s12, v1
	s_add_nc_u64 s[6:7], s[10:11], s[6:7]
	s_load_b64 s[6:7], s[6:7], 0x0
	v_subrev_nc_u32_e32 v0, 64, v0
	s_wait_kmcnt 0x0
	v_max_num_f32_e64 v1, s6, s6
	s_delay_alu instid0(VALU_DEP_1) | instskip(SKIP_1) | instid1(SALU_CYCLE_3)
	v_readfirstlane_b32 s13, v1
	s_max_num_f32 s12, s12, s13
	s_sub_f32 s0, s0, s12
	s_sub_f32 s6, s6, s12
	s_delay_alu instid0(SALU_CYCLE_2) | instskip(NEXT) | instid1(SALU_CYCLE_2)
	s_mul_f32 s13, s0, 0x3fb8aa3b
	s_mul_f32 s14, s6, 0x3fb8aa3b
	s_delay_alu instid0(SALU_CYCLE_2)
	s_xor_b32 s15, s13, 0x80000000
	s_rndne_f32 s16, s13
	s_fmamk_f32 s15, s0, 0x3fb8aa3b, s15
	s_cmp_nlt_f32 s0, 0xc2ce8ed0
	s_rndne_f32 s17, s14
	s_sub_f32 s13, s13, s16
	s_fmamk_f32 s15, s0, 0x32a5705f, s15
	s_cselect_b32 vcc_lo, -1, 0
	s_cmp_ngt_f32 s0, 0x42b17218
	s_delay_alu instid0(SALU_CYCLE_1) | instskip(SKIP_2) | instid1(SALU_CYCLE_1)
	s_add_f32 s13, s13, s15
	s_cvt_i32_f32 s15, s16
	s_sub_f32 s16, s14, s17
	v_s_exp_f32 s13, s13
	v_nop
	s_delay_alu instid0(TRANS32_DEP_1) | instskip(SKIP_1) | instid1(VALU_DEP_1)
	v_ldexp_f32 v1, s13, s15
	s_cvt_i32_f32 s13, s17
	v_cndmask_b32_e32 v1, 0, v1, vcc_lo
	s_cselect_b32 vcc_lo, -1, 0
	s_cmp_ge_f32 s0, 0xc1a00000
	s_delay_alu instid0(VALU_DEP_1)
	v_cndmask_b32_e32 v1, 0x7f800000, v1, vcc_lo
	s_cselect_b32 vcc_lo, -1, 0
	s_xor_b32 s0, s14, 0x80000000
	s_cmp_nlt_f32 s6, 0xc2ce8ed0
	s_fmamk_f32 s0, s6, 0x3fb8aa3b, s0
	v_cndmask_b32_e32 v10, 0, v1, vcc_lo
	s_delay_alu instid0(SALU_CYCLE_2) | instskip(NEXT) | instid1(SALU_CYCLE_3)
	s_fmamk_f32 s0, s6, 0x32a5705f, s0
	s_add_f32 s0, s16, s0
	s_delay_alu instid0(SALU_CYCLE_3) | instskip(SKIP_1) | instid1(TRANS32_DEP_1)
	v_s_exp_f32 s0, s0
	v_nop
	v_ldexp_f32 v6, s0, s13
	s_cselect_b32 s0, -1, 0
	s_cmp_ngt_f32 s6, 0x42b17218
	s_delay_alu instid0(VALU_DEP_1) | instskip(SKIP_2) | instid1(VALU_DEP_1)
	v_cndmask_b32_e64 v6, 0, v6, s0
	s_cselect_b32 s0, -1, 0
	s_cmp_ge_f32 s6, 0xc1a00000
	v_cndmask_b32_e64 v8, 0x7f800000, v6, s0
	s_cselect_b32 s0, -1, 0
	v_mov_b32_e32 v6, s7
	s_cmp_le_i32 s1, s5
	s_delay_alu instid0(VALU_DEP_2) | instskip(SKIP_2) | instid1(VALU_DEP_1)
	v_cndmask_b32_e64 v8, 0, v8, s0
	s_mov_b32 s0, s12
	s_wait_loadcnt 0x0
	v_pk_mul_f32 v[6:7], v[6:7], v[8:9] op_sel_hi:[1,0]
	s_delay_alu instid0(VALU_DEP_1)
	v_pk_fma_f32 v[2:3], v[2:3], v[10:11], v[6:7] op_sel_hi:[1,0,1]
	s_cbranch_scc0 .LBB2_3
	s_branch .LBB2_5
.LBB2_4:
	s_wait_kmcnt 0x0
	v_mov_b32_e32 v2, s3
.LBB2_5:
	v_lshl_add_u64 v[0:1], v[4:5], 2, s[8:9]
	s_wait_loadcnt 0x0
	s_delay_alu instid0(VALU_DEP_2) | instskip(NEXT) | instid1(VALU_DEP_1)
	v_div_scale_f32 v4, null, v2, v2, v3
	v_rcp_f32_e32 v5, v4
	v_nop
	s_delay_alu instid0(TRANS32_DEP_1) | instskip(NEXT) | instid1(VALU_DEP_1)
	v_fma_f32 v6, -v4, v5, 1.0
	v_fmac_f32_e32 v5, v6, v5
	v_div_scale_f32 v6, vcc_lo, v3, v2, v3
	s_delay_alu instid0(VALU_DEP_1) | instskip(NEXT) | instid1(VALU_DEP_1)
	v_mul_f32_e32 v7, v6, v5
	v_fma_f32 v8, -v4, v7, v6
	s_delay_alu instid0(VALU_DEP_1) | instskip(NEXT) | instid1(VALU_DEP_1)
	v_fmac_f32_e32 v7, v8, v5
	v_fma_f32 v4, -v4, v7, v6
	s_delay_alu instid0(VALU_DEP_1) | instskip(NEXT) | instid1(VALU_DEP_1)
	v_div_fmas_f32 v4, v4, v5, v7
	v_div_fixup_f32 v2, v4, v2, v3
	global_store_b32 v[0:1], v2, off
.LBB2_6:
	s_endpgm
	.section	.rodata,"a",@progbits
	.p2align	6, 0x0
	.amdhsa_kernel _ZL33flash_attn_stream_k_fixup_uniformILi64ELi1ELi1EEvPfPK15HIP_vector_typeIfLj2EEiiiiiiS1_IjLj3EES5_S5_
		.amdhsa_group_segment_fixed_size 0
		.amdhsa_private_segment_fixed_size 0
		.amdhsa_kernarg_size 76
		.amdhsa_user_sgpr_count 2
		.amdhsa_user_sgpr_dispatch_ptr 0
		.amdhsa_user_sgpr_queue_ptr 0
		.amdhsa_user_sgpr_kernarg_segment_ptr 1
		.amdhsa_user_sgpr_dispatch_id 0
		.amdhsa_user_sgpr_kernarg_preload_length 0
		.amdhsa_user_sgpr_kernarg_preload_offset 0
		.amdhsa_user_sgpr_private_segment_size 0
		.amdhsa_wavefront_size32 1
		.amdhsa_uses_dynamic_stack 0
		.amdhsa_enable_private_segment 0
		.amdhsa_system_sgpr_workgroup_id_x 1
		.amdhsa_system_sgpr_workgroup_id_y 1
		.amdhsa_system_sgpr_workgroup_id_z 1
		.amdhsa_system_sgpr_workgroup_info 0
		.amdhsa_system_vgpr_workitem_id 0
		.amdhsa_next_free_vgpr 12
		.amdhsa_next_free_sgpr 21
		.amdhsa_named_barrier_count 0
		.amdhsa_reserve_vcc 1
		.amdhsa_float_round_mode_32 0
		.amdhsa_float_round_mode_16_64 0
		.amdhsa_float_denorm_mode_32 3
		.amdhsa_float_denorm_mode_16_64 3
		.amdhsa_fp16_overflow 0
		.amdhsa_memory_ordered 1
		.amdhsa_forward_progress 1
		.amdhsa_inst_pref_size 8
		.amdhsa_round_robin_scheduling 0
		.amdhsa_exception_fp_ieee_invalid_op 0
		.amdhsa_exception_fp_denorm_src 0
		.amdhsa_exception_fp_ieee_div_zero 0
		.amdhsa_exception_fp_ieee_overflow 0
		.amdhsa_exception_fp_ieee_underflow 0
		.amdhsa_exception_fp_ieee_inexact 0
		.amdhsa_exception_int_div_zero 0
	.end_amdhsa_kernel
	.section	.text._ZL33flash_attn_stream_k_fixup_uniformILi64ELi1ELi1EEvPfPK15HIP_vector_typeIfLj2EEiiiiiiS1_IjLj3EES5_S5_,"axG",@progbits,_ZL33flash_attn_stream_k_fixup_uniformILi64ELi1ELi1EEvPfPK15HIP_vector_typeIfLj2EEiiiiiiS1_IjLj3EES5_S5_,comdat
.Lfunc_end2:
	.size	_ZL33flash_attn_stream_k_fixup_uniformILi64ELi1ELi1EEvPfPK15HIP_vector_typeIfLj2EEiiiiiiS1_IjLj3EES5_S5_, .Lfunc_end2-_ZL33flash_attn_stream_k_fixup_uniformILi64ELi1ELi1EEvPfPK15HIP_vector_typeIfLj2EEiiiiiiS1_IjLj3EES5_S5_
                                        ; -- End function
	.set _ZL33flash_attn_stream_k_fixup_uniformILi64ELi1ELi1EEvPfPK15HIP_vector_typeIfLj2EEiiiiiiS1_IjLj3EES5_S5_.num_vgpr, 12
	.set _ZL33flash_attn_stream_k_fixup_uniformILi64ELi1ELi1EEvPfPK15HIP_vector_typeIfLj2EEiiiiiiS1_IjLj3EES5_S5_.num_agpr, 0
	.set _ZL33flash_attn_stream_k_fixup_uniformILi64ELi1ELi1EEvPfPK15HIP_vector_typeIfLj2EEiiiiiiS1_IjLj3EES5_S5_.numbered_sgpr, 21
	.set _ZL33flash_attn_stream_k_fixup_uniformILi64ELi1ELi1EEvPfPK15HIP_vector_typeIfLj2EEiiiiiiS1_IjLj3EES5_S5_.num_named_barrier, 0
	.set _ZL33flash_attn_stream_k_fixup_uniformILi64ELi1ELi1EEvPfPK15HIP_vector_typeIfLj2EEiiiiiiS1_IjLj3EES5_S5_.private_seg_size, 0
	.set _ZL33flash_attn_stream_k_fixup_uniformILi64ELi1ELi1EEvPfPK15HIP_vector_typeIfLj2EEiiiiiiS1_IjLj3EES5_S5_.uses_vcc, 1
	.set _ZL33flash_attn_stream_k_fixup_uniformILi64ELi1ELi1EEvPfPK15HIP_vector_typeIfLj2EEiiiiiiS1_IjLj3EES5_S5_.uses_flat_scratch, 0
	.set _ZL33flash_attn_stream_k_fixup_uniformILi64ELi1ELi1EEvPfPK15HIP_vector_typeIfLj2EEiiiiiiS1_IjLj3EES5_S5_.has_dyn_sized_stack, 0
	.set _ZL33flash_attn_stream_k_fixup_uniformILi64ELi1ELi1EEvPfPK15HIP_vector_typeIfLj2EEiiiiiiS1_IjLj3EES5_S5_.has_recursion, 0
	.set _ZL33flash_attn_stream_k_fixup_uniformILi64ELi1ELi1EEvPfPK15HIP_vector_typeIfLj2EEiiiiiiS1_IjLj3EES5_S5_.has_indirect_call, 0
	.section	.AMDGPU.csdata,"",@progbits
; Kernel info:
; codeLenInByte = 1012
; TotalNumSgprs: 23
; NumVgprs: 12
; ScratchSize: 0
; MemoryBound: 0
; FloatMode: 240
; IeeeMode: 1
; LDSByteSize: 0 bytes/workgroup (compile time only)
; SGPRBlocks: 0
; VGPRBlocks: 0
; NumSGPRsForWavesPerEU: 23
; NumVGPRsForWavesPerEU: 12
; NamedBarCnt: 0
; Occupancy: 16
; WaveLimiterHint : 0
; COMPUTE_PGM_RSRC2:SCRATCH_EN: 0
; COMPUTE_PGM_RSRC2:USER_SGPR: 2
; COMPUTE_PGM_RSRC2:TRAP_HANDLER: 0
; COMPUTE_PGM_RSRC2:TGID_X_EN: 1
; COMPUTE_PGM_RSRC2:TGID_Y_EN: 1
; COMPUTE_PGM_RSRC2:TGID_Z_EN: 1
; COMPUTE_PGM_RSRC2:TIDIG_COMP_CNT: 0
	.section	.text._ZL33flash_attn_stream_k_fixup_generalILi64ELi1ELi1EEvPfPK15HIP_vector_typeIfLj2EEiiiiS1_IjLj3EES5_S5_S5_,"axG",@progbits,_ZL33flash_attn_stream_k_fixup_generalILi64ELi1ELi1EEvPfPK15HIP_vector_typeIfLj2EEiiiiS1_IjLj3EES5_S5_S5_,comdat
	.globl	_ZL33flash_attn_stream_k_fixup_generalILi64ELi1ELi1EEvPfPK15HIP_vector_typeIfLj2EEiiiiS1_IjLj3EES5_S5_S5_ ; -- Begin function _ZL33flash_attn_stream_k_fixup_generalILi64ELi1ELi1EEvPfPK15HIP_vector_typeIfLj2EEiiiiS1_IjLj3EES5_S5_S5_
	.p2align	8
	.type	_ZL33flash_attn_stream_k_fixup_generalILi64ELi1ELi1EEvPfPK15HIP_vector_typeIfLj2EEiiiiS1_IjLj3EES5_S5_S5_,@function
_ZL33flash_attn_stream_k_fixup_generalILi64ELi1ELi1EEvPfPK15HIP_vector_typeIfLj2EEiiiiS1_IjLj3EES5_S5_S5_: ; @_ZL33flash_attn_stream_k_fixup_generalILi64ELi1ELi1EEvPfPK15HIP_vector_typeIfLj2EEiiiiS1_IjLj3EES5_S5_S5_
; %bb.0:
	s_clause 0x1
	s_load_b128 s[4:7], s[0:1], 0x10
	s_load_b32 s16, s[0:1], 0x50
	s_bfe_u32 s2, ttmp6, 0x4000c
	s_and_b32 s3, ttmp6, 15
	s_add_co_i32 s2, s2, 1
	s_getreg_b32 s15, hwreg(HW_REG_IB_STS2, 6, 4)
	s_mul_i32 s2, ttmp9, s2
	s_mov_b32 s17, 0
	s_add_co_i32 s3, s3, s2
	s_cmp_eq_u32 s15, 0
	s_cselect_b32 s2, ttmp9, s3
	s_delay_alu instid0(SALU_CYCLE_1) | instskip(SKIP_3) | instid1(SALU_CYCLE_1)
	s_ashr_i32 s3, s2, 31
	s_wait_kmcnt 0x0
	s_ashr_i32 s19, s7, 31
	s_mov_b32 s18, s7
	s_mul_u64 s[8:9], s[18:19], s[2:3]
	s_delay_alu instid0(SALU_CYCLE_1) | instskip(NEXT) | instid1(SALU_CYCLE_1)
	s_and_b64 s[10:11], s[8:9], 0xffffffff00000000
	s_cmp_lg_u64 s[10:11], 0
	s_cbranch_scc0 .LBB3_21
; %bb.1:
	s_add_nc_u64 s[10:11], s[16:17], 0
	s_mov_b32 s23, s17
	s_xor_b64 s[10:11], s[10:11], 0
	s_mov_b32 s27, s17
	s_cvt_f32_u32 s3, s10
	s_cvt_f32_u32 s7, s11
	s_sub_nc_u64 s[20:21], 0, s[10:11]
	s_delay_alu instid0(SALU_CYCLE_2) | instskip(NEXT) | instid1(SALU_CYCLE_3)
	s_fmamk_f32 s3, s7, 0x4f800000, s3
	v_s_rcp_f32 s3, s3
	s_delay_alu instid0(TRANS32_DEP_1) | instskip(NEXT) | instid1(SALU_CYCLE_3)
	s_mul_f32 s3, s3, 0x5f7ffffc
	s_mul_f32 s7, s3, 0x2f800000
	s_delay_alu instid0(SALU_CYCLE_3) | instskip(NEXT) | instid1(SALU_CYCLE_3)
	s_trunc_f32 s7, s7
	s_fmamk_f32 s3, s7, 0xcf800000, s3
	s_cvt_u32_f32 s13, s7
	s_delay_alu instid0(SALU_CYCLE_2) | instskip(NEXT) | instid1(SALU_CYCLE_3)
	s_cvt_u32_f32 s12, s3
	s_mul_u64 s[24:25], s[20:21], s[12:13]
	s_delay_alu instid0(SALU_CYCLE_1)
	s_mul_hi_u32 s29, s12, s25
	s_mul_i32 s28, s12, s25
	s_mul_hi_u32 s22, s12, s24
	s_mul_i32 s7, s13, s24
	s_add_nc_u64 s[22:23], s[22:23], s[28:29]
	s_mul_hi_u32 s3, s13, s24
	s_mul_hi_u32 s14, s13, s25
	s_add_co_u32 s7, s22, s7
	s_add_co_ci_u32 s26, s23, s3
	s_mul_i32 s24, s13, s25
	s_add_co_ci_u32 s25, s14, 0
	s_delay_alu instid0(SALU_CYCLE_1) | instskip(SKIP_3) | instid1(SALU_CYCLE_1)
	s_add_nc_u64 s[22:23], s[26:27], s[24:25]
	s_mov_b32 s25, s17
	s_add_co_u32 s12, s12, s22
	s_cselect_b32 s3, -1, 0
	s_cmp_lg_u32 s3, 0
	s_add_co_ci_u32 s13, s13, s23
	s_mov_b32 s23, s17
	s_mul_u64 s[20:21], s[20:21], s[12:13]
	s_delay_alu instid0(SALU_CYCLE_1)
	s_mul_hi_u32 s27, s12, s21
	s_mul_i32 s26, s12, s21
	s_mul_hi_u32 s22, s12, s20
	s_mul_i32 s7, s13, s20
	s_add_nc_u64 s[22:23], s[22:23], s[26:27]
	s_mul_hi_u32 s3, s13, s20
	s_mul_hi_u32 s14, s13, s21
	s_add_co_u32 s7, s22, s7
	s_add_co_ci_u32 s24, s23, s3
	s_mul_i32 s20, s13, s21
	s_add_co_ci_u32 s21, s14, 0
	s_mov_b32 s23, s17
	s_add_nc_u64 s[20:21], s[24:25], s[20:21]
	s_delay_alu instid0(SALU_CYCLE_1) | instskip(SKIP_1) | instid1(SALU_CYCLE_1)
	s_add_co_u32 s3, s12, s20
	s_cselect_b32 s7, -1, 0
	s_cmp_lg_u32 s7, 0
	s_add_co_ci_u32 s7, s13, s21
	s_ashr_i32 s12, s9, 31
	s_delay_alu instid0(SALU_CYCLE_1) | instskip(NEXT) | instid1(SALU_CYCLE_1)
	s_mov_b32 s13, s12
	s_add_nc_u64 s[20:21], s[8:9], s[12:13]
	s_delay_alu instid0(SALU_CYCLE_1) | instskip(NEXT) | instid1(SALU_CYCLE_1)
	s_xor_b64 s[20:21], s[20:21], s[12:13]
	s_mul_hi_u32 s27, s20, s7
	s_mul_i32 s26, s20, s7
	s_mul_hi_u32 s22, s20, s3
	s_mul_hi_u32 s14, s21, s3
	s_mul_i32 s3, s21, s3
	s_add_nc_u64 s[22:23], s[22:23], s[26:27]
	s_mul_hi_u32 s9, s21, s7
	s_add_co_u32 s3, s22, s3
	s_add_co_ci_u32 s24, s23, s14
	s_mul_i32 s26, s21, s7
	s_add_co_ci_u32 s27, s9, 0
	s_delay_alu instid0(SALU_CYCLE_1) | instskip(NEXT) | instid1(SALU_CYCLE_1)
	s_add_nc_u64 s[22:23], s[24:25], s[26:27]
	s_and_b64 s[24:25], s[22:23], 0xffffffff00000000
	s_delay_alu instid0(SALU_CYCLE_1) | instskip(NEXT) | instid1(SALU_CYCLE_1)
	s_or_b32 s24, s24, s22
	s_mul_u64 s[22:23], s[10:11], s[24:25]
	s_add_nc_u64 s[26:27], s[24:25], 1
	s_sub_co_u32 s3, s20, s22
	s_cselect_b32 s7, -1, 0
	s_sub_co_i32 s9, s21, s23
	s_cmp_lg_u32 s7, 0
	s_add_nc_u64 s[28:29], s[24:25], 2
	s_sub_co_ci_u32 s9, s9, s11
	s_sub_co_u32 s14, s3, s10
	s_cselect_b32 s20, -1, 0
	s_delay_alu instid0(SALU_CYCLE_1) | instskip(SKIP_1) | instid1(SALU_CYCLE_1)
	s_cmp_lg_u32 s20, 0
	s_sub_co_ci_u32 s9, s9, 0
	s_cmp_ge_u32 s9, s11
	s_cselect_b32 s20, -1, 0
	s_cmp_ge_u32 s14, s10
	s_cselect_b32 s14, -1, 0
	s_cmp_eq_u32 s9, s11
	s_cselect_b32 s9, s14, s20
	s_delay_alu instid0(SALU_CYCLE_1) | instskip(SKIP_4) | instid1(SALU_CYCLE_1)
	s_cmp_lg_u32 s9, 0
	s_cselect_b32 s9, s28, s26
	s_cselect_b32 s14, s29, s27
	s_cmp_lg_u32 s7, 0
	s_sub_co_ci_u32 s7, s21, s23
	s_cmp_ge_u32 s7, s11
	s_cselect_b32 s20, -1, 0
	s_cmp_ge_u32 s3, s10
	s_cselect_b32 s3, -1, 0
	s_cmp_eq_u32 s7, s11
	s_cselect_b32 s3, s3, s20
	s_delay_alu instid0(SALU_CYCLE_1) | instskip(SKIP_4) | instid1(SALU_CYCLE_1)
	s_cmp_lg_u32 s3, 0
	s_mov_b32 s3, s17
	s_cselect_b32 s11, s14, s25
	s_cselect_b32 s10, s9, s24
	s_xor_b64 s[12:13], s[12:13], 0
	s_xor_b64 s[10:11], s[10:11], s[12:13]
	s_delay_alu instid0(SALU_CYCLE_1)
	s_sub_nc_u64 s[20:21], s[10:11], s[12:13]
	s_and_not1_b32 vcc_lo, exec_lo, s3
	s_cbranch_vccnz .LBB3_3
.LBB3_2:
	v_cvt_f32_u32_e32 v1, s16
	s_sub_co_i32 s7, 0, s16
	s_mov_b32 s21, 0
	s_delay_alu instid0(VALU_DEP_1) | instskip(SKIP_1) | instid1(TRANS32_DEP_1)
	v_rcp_iflag_f32_e32 v1, v1
	v_nop
	v_mul_f32_e32 v1, 0x4f7ffffe, v1
	s_delay_alu instid0(VALU_DEP_1) | instskip(NEXT) | instid1(VALU_DEP_1)
	v_cvt_u32_f32_e32 v1, v1
	v_readfirstlane_b32 s3, v1
	s_mul_i32 s7, s7, s3
	s_delay_alu instid0(SALU_CYCLE_1) | instskip(NEXT) | instid1(SALU_CYCLE_1)
	s_mul_hi_u32 s7, s3, s7
	s_add_co_i32 s3, s3, s7
	s_delay_alu instid0(SALU_CYCLE_1) | instskip(NEXT) | instid1(SALU_CYCLE_1)
	s_mul_hi_u32 s3, s8, s3
	s_mul_i32 s7, s3, s16
	s_delay_alu instid0(SALU_CYCLE_1)
	s_sub_co_i32 s7, s8, s7
	s_add_co_i32 s8, s3, 1
	s_sub_co_i32 s9, s7, s16
	s_cmp_ge_u32 s7, s16
	s_cselect_b32 s3, s8, s3
	s_cselect_b32 s7, s9, s7
	s_add_co_i32 s8, s3, 1
	s_cmp_ge_u32 s7, s16
	s_cselect_b32 s20, s8, s3
.LBB3_3:
	s_add_co_i32 s8, s2, 1
	s_delay_alu instid0(SALU_CYCLE_1) | instskip(NEXT) | instid1(SALU_CYCLE_1)
	s_ashr_i32 s9, s8, 31
	s_mul_u64 s[8:9], s[18:19], s[8:9]
	s_delay_alu instid0(SALU_CYCLE_1) | instskip(NEXT) | instid1(SALU_CYCLE_1)
	s_and_b64 s[10:11], s[8:9], 0xffffffff00000000
	s_cmp_lg_u64 s[10:11], 0
	s_cbranch_scc0 .LBB3_22
; %bb.4:
	s_add_nc_u64 s[10:11], s[16:17], 0
	s_delay_alu instid0(SALU_CYCLE_1) | instskip(SKIP_4) | instid1(SALU_CYCLE_2)
	s_xor_b64 s[12:13], s[10:11], 0
	s_mov_b32 s11, 0
	s_cvt_f32_u32 s3, s12
	s_cvt_f32_u32 s7, s13
	s_sub_nc_u64 s[24:25], 0, s[12:13]
	s_fmamk_f32 s3, s7, 0x4f800000, s3
	s_delay_alu instid0(SALU_CYCLE_3) | instskip(NEXT) | instid1(TRANS32_DEP_1)
	v_s_rcp_f32 s3, s3
	s_mul_f32 s3, s3, 0x5f7ffffc
	s_delay_alu instid0(SALU_CYCLE_3) | instskip(NEXT) | instid1(SALU_CYCLE_3)
	s_mul_f32 s7, s3, 0x2f800000
	s_trunc_f32 s7, s7
	s_delay_alu instid0(SALU_CYCLE_3) | instskip(SKIP_1) | instid1(SALU_CYCLE_2)
	s_fmamk_f32 s3, s7, 0xcf800000, s3
	s_cvt_u32_f32 s23, s7
	s_cvt_u32_f32 s22, s3
	s_delay_alu instid0(SALU_CYCLE_3) | instskip(NEXT) | instid1(SALU_CYCLE_1)
	s_mul_u64 s[26:27], s[24:25], s[22:23]
	s_mul_hi_u32 s29, s22, s27
	s_mul_i32 s28, s22, s27
	s_mul_hi_u32 s10, s22, s26
	s_mul_i32 s7, s23, s26
	s_add_nc_u64 s[28:29], s[10:11], s[28:29]
	s_mul_hi_u32 s3, s23, s26
	s_mul_hi_u32 s14, s23, s27
	s_add_co_u32 s7, s28, s7
	s_add_co_ci_u32 s10, s29, s3
	s_mul_i32 s26, s23, s27
	s_add_co_ci_u32 s27, s14, 0
	s_delay_alu instid0(SALU_CYCLE_1) | instskip(NEXT) | instid1(SALU_CYCLE_1)
	s_add_nc_u64 s[26:27], s[10:11], s[26:27]
	s_add_co_u32 s22, s22, s26
	s_cselect_b32 s3, -1, 0
	s_delay_alu instid0(SALU_CYCLE_1) | instskip(SKIP_1) | instid1(SALU_CYCLE_1)
	s_cmp_lg_u32 s3, 0
	s_add_co_ci_u32 s23, s23, s27
	s_mul_u64 s[24:25], s[24:25], s[22:23]
	s_delay_alu instid0(SALU_CYCLE_1)
	s_mul_hi_u32 s27, s22, s25
	s_mul_i32 s26, s22, s25
	s_mul_hi_u32 s10, s22, s24
	s_mul_i32 s7, s23, s24
	s_add_nc_u64 s[26:27], s[10:11], s[26:27]
	s_mul_hi_u32 s3, s23, s24
	s_mul_hi_u32 s14, s23, s25
	s_add_co_u32 s7, s26, s7
	s_add_co_ci_u32 s10, s27, s3
	s_mul_i32 s24, s23, s25
	s_add_co_ci_u32 s25, s14, 0
	s_delay_alu instid0(SALU_CYCLE_1) | instskip(NEXT) | instid1(SALU_CYCLE_1)
	s_add_nc_u64 s[24:25], s[10:11], s[24:25]
	s_add_co_u32 s3, s22, s24
	s_cselect_b32 s7, -1, 0
	s_delay_alu instid0(SALU_CYCLE_1) | instskip(SKIP_2) | instid1(SALU_CYCLE_1)
	s_cmp_lg_u32 s7, 0
	s_add_co_ci_u32 s7, s23, s25
	s_ashr_i32 s22, s9, 31
	s_mov_b32 s23, s22
	s_delay_alu instid0(SALU_CYCLE_1) | instskip(NEXT) | instid1(SALU_CYCLE_1)
	s_add_nc_u64 s[24:25], s[8:9], s[22:23]
	s_xor_b64 s[24:25], s[24:25], s[22:23]
	s_delay_alu instid0(SALU_CYCLE_1)
	s_mul_hi_u32 s27, s24, s7
	s_mul_i32 s26, s24, s7
	s_mul_hi_u32 s10, s24, s3
	s_mul_hi_u32 s14, s25, s3
	s_mul_i32 s3, s25, s3
	s_add_nc_u64 s[26:27], s[10:11], s[26:27]
	s_mul_hi_u32 s9, s25, s7
	s_add_co_u32 s3, s26, s3
	s_add_co_ci_u32 s10, s27, s14
	s_mul_i32 s28, s25, s7
	s_add_co_ci_u32 s29, s9, 0
	s_delay_alu instid0(SALU_CYCLE_1) | instskip(NEXT) | instid1(SALU_CYCLE_1)
	s_add_nc_u64 s[26:27], s[10:11], s[28:29]
	s_and_b64 s[28:29], s[26:27], 0xffffffff00000000
	s_delay_alu instid0(SALU_CYCLE_1) | instskip(NEXT) | instid1(SALU_CYCLE_1)
	s_or_b32 s28, s28, s26
	s_mul_u64 s[26:27], s[12:13], s[28:29]
	s_add_nc_u64 s[30:31], s[28:29], 1
	s_sub_co_u32 s3, s24, s26
	s_cselect_b32 s7, -1, 0
	s_sub_co_i32 s9, s25, s27
	s_cmp_lg_u32 s7, 0
	s_add_nc_u64 s[34:35], s[28:29], 2
	s_sub_co_ci_u32 s9, s9, s13
	s_sub_co_u32 s10, s3, s12
	s_cselect_b32 s14, -1, 0
	s_delay_alu instid0(SALU_CYCLE_1) | instskip(SKIP_1) | instid1(SALU_CYCLE_1)
	s_cmp_lg_u32 s14, 0
	s_sub_co_ci_u32 s9, s9, 0
	s_cmp_ge_u32 s9, s13
	s_cselect_b32 s14, -1, 0
	s_cmp_ge_u32 s10, s12
	s_cselect_b32 s10, -1, 0
	s_cmp_eq_u32 s9, s13
	s_cselect_b32 s9, s10, s14
	s_delay_alu instid0(SALU_CYCLE_1) | instskip(SKIP_4) | instid1(SALU_CYCLE_1)
	s_cmp_lg_u32 s9, 0
	s_cselect_b32 s9, s34, s30
	s_cselect_b32 s10, s35, s31
	s_cmp_lg_u32 s7, 0
	s_sub_co_ci_u32 s7, s25, s27
	s_cmp_ge_u32 s7, s13
	s_cselect_b32 s14, -1, 0
	s_cmp_ge_u32 s3, s12
	s_cselect_b32 s3, -1, 0
	s_cmp_eq_u32 s7, s13
	s_cselect_b32 s3, s3, s14
	s_delay_alu instid0(SALU_CYCLE_1) | instskip(SKIP_3) | instid1(SALU_CYCLE_1)
	s_cmp_lg_u32 s3, 0
	s_cselect_b32 s13, s10, s29
	s_cselect_b32 s12, s9, s28
	s_xor_b64 s[22:23], s[22:23], 0
	s_xor_b64 s[12:13], s[12:13], s[22:23]
	s_delay_alu instid0(SALU_CYCLE_1)
	s_sub_nc_u64 s[24:25], s[12:13], s[22:23]
	s_load_b96 s[12:14], s[0:1], 0x44
	s_cbranch_execnz .LBB3_6
.LBB3_5:
	v_cvt_f32_u32_e32 v1, s16
	s_sub_co_i32 s7, 0, s16
	s_delay_alu instid0(VALU_DEP_1) | instskip(SKIP_1) | instid1(TRANS32_DEP_1)
	v_rcp_iflag_f32_e32 v1, v1
	v_nop
	v_mul_f32_e32 v1, 0x4f7ffffe, v1
	s_delay_alu instid0(VALU_DEP_1) | instskip(NEXT) | instid1(VALU_DEP_1)
	v_cvt_u32_f32_e32 v1, v1
	v_readfirstlane_b32 s3, v1
	s_mul_i32 s7, s7, s3
	s_delay_alu instid0(SALU_CYCLE_1) | instskip(NEXT) | instid1(SALU_CYCLE_1)
	s_mul_hi_u32 s7, s3, s7
	s_add_co_i32 s3, s3, s7
	s_delay_alu instid0(SALU_CYCLE_1) | instskip(NEXT) | instid1(SALU_CYCLE_1)
	s_mul_hi_u32 s3, s8, s3
	s_mul_i32 s7, s3, s16
	s_delay_alu instid0(SALU_CYCLE_1)
	s_sub_co_i32 s7, s8, s7
	s_add_co_i32 s8, s3, 1
	s_sub_co_i32 s9, s7, s16
	s_cmp_ge_u32 s7, s16
	s_cselect_b32 s3, s8, s3
	s_cselect_b32 s7, s9, s7
	s_add_co_i32 s8, s3, 1
	s_cmp_ge_u32 s7, s16
	s_cselect_b32 s24, s8, s3
.LBB3_6:
	s_delay_alu instid0(SALU_CYCLE_1)
	s_cmp_eq_u32 s20, s24
	s_mov_b64 s[8:9], 0xffffffff
	s_cselect_b32 s3, -1, 0
	s_and_b64 s[8:9], s[20:21], s[8:9]
	s_mov_b32 s23, 0
	s_wait_kmcnt 0x0
	s_mov_b32 s22, s12
	s_mov_b32 s25, s23
	s_mul_u64 s[10:11], s[8:9], s[22:23]
	s_delay_alu instid0(SALU_CYCLE_1) | instskip(SKIP_2) | instid1(SALU_CYCLE_1)
	s_add_co_i32 s7, s11, s20
	s_mul_u64 s[10:11], s[24:25], s[22:23]
	s_lshr_b32 s12, s7, s13
	s_mul_i32 s7, s12, s14
	s_delay_alu instid0(SALU_CYCLE_1) | instskip(SKIP_2) | instid1(SALU_CYCLE_1)
	s_cmp_eq_u32 s7, s20
	s_cselect_b32 s7, -1, 0
	s_add_co_i32 s10, s11, s24
	s_lshr_b32 s10, s10, s13
	s_delay_alu instid0(SALU_CYCLE_1)
	s_cmp_eq_u32 s12, s10
	s_mul_i32 s10, s10, s14
	s_cselect_b32 s11, -1, 0
	s_cmp_lg_u32 s10, s24
	s_cselect_b32 s10, -1, 0
	s_or_b32 s3, s3, s7
	s_and_b32 s10, s11, s10
	s_delay_alu instid0(SALU_CYCLE_1) | instskip(NEXT) | instid1(SALU_CYCLE_1)
	s_or_b32 s3, s3, s10
	s_and_b32 vcc_lo, exec_lo, s3
	s_cbranch_vccnz .LBB3_24
; %bb.7:
	s_load_b256 s[24:31], s[0:1], 0x20
	s_bfe_u32 s7, ttmp6, 0x40014
	s_bfe_u32 s33, ttmp6, 0x40010
	s_lshr_b32 s3, ttmp7, 16
	s_add_co_i32 s7, s7, 1
	s_and_b32 s21, ttmp7, 0xffff
	s_add_co_i32 s33, s33, 1
	s_bfe_u32 s10, ttmp6, 0x40008
	s_mul_i32 s7, s3, s7
	s_bfe_u32 s34, ttmp6, 0x40004
	s_mul_i32 s33, s21, s33
	s_mov_b32 s11, s23
	s_add_co_i32 s7, s10, s7
	s_add_co_i32 s34, s34, s33
	s_cmp_eq_u32 s15, 0
	s_cselect_b32 s15, s21, s34
	s_cselect_b32 s3, s3, s7
	s_wait_kmcnt 0x0
	s_mov_b32 s10, s24
	s_delay_alu instid0(SALU_CYCLE_1) | instskip(SKIP_2) | instid1(SALU_CYCLE_1)
	s_mul_u64 s[8:9], s[8:9], s[10:11]
	s_load_b32 s8, s[0:1], 0x40
	s_add_co_i32 s7, s9, s20
	s_lshr_b32 s7, s7, s25
	s_delay_alu instid0(SALU_CYCLE_1) | instskip(NEXT) | instid1(SALU_CYCLE_1)
	s_mul_i32 s9, s7, s26
	s_sub_co_i32 s9, s20, s9
	s_delay_alu instid0(SALU_CYCLE_1) | instskip(NEXT) | instid1(SALU_CYCLE_1)
	s_mul_hi_u32 s10, s9, s27
	s_add_co_i32 s10, s9, s10
	s_delay_alu instid0(SALU_CYCLE_1) | instskip(NEXT) | instid1(SALU_CYCLE_1)
	s_lshr_b32 s21, s10, s28
	s_mul_i32 s10, s21, s29
	s_delay_alu instid0(SALU_CYCLE_1) | instskip(NEXT) | instid1(SALU_CYCLE_1)
	s_sub_co_i32 s10, s9, s10
	s_mul_hi_u32 s9, s10, s30
	s_delay_alu instid0(SALU_CYCLE_1) | instskip(NEXT) | instid1(SALU_CYCLE_1)
	s_add_co_i32 s9, s10, s9
	s_lshr_b32 s25, s9, s31
	s_mov_b32 s9, s23
	s_wait_kmcnt 0x0
	s_mul_i32 s8, s25, s8
	s_delay_alu instid0(SALU_CYCLE_1) | instskip(NEXT) | instid1(SALU_CYCLE_1)
	s_sub_co_i32 s8, s10, s8
	s_mul_u64 s[10:11], s[8:9], s[22:23]
	s_delay_alu instid0(SALU_CYCLE_1) | instskip(NEXT) | instid1(SALU_CYCLE_1)
	s_add_co_i32 s8, s8, s11
	s_lshr_b32 s24, s8, s13
	s_delay_alu instid0(SALU_CYCLE_1) | instskip(NEXT) | instid1(SALU_CYCLE_1)
	s_add_co_i32 s24, s24, s15
	s_cmp_lt_i32 s24, s4
	s_cselect_b32 s8, -1, 0
	s_add_co_i32 s25, s25, s3
	s_delay_alu instid0(SALU_CYCLE_1) | instskip(SKIP_1) | instid1(SALU_CYCLE_1)
	s_cmp_lt_i32 s25, s6
	s_cselect_b32 s9, -1, 0
	s_and_b32 s8, s8, s9
	s_delay_alu instid0(SALU_CYCLE_1)
	s_and_not1_b32 vcc_lo, exec_lo, s8
	s_cbranch_vccnz .LBB3_24
; %bb.8:
	s_load_b128 s[8:11], s[0:1], 0x0
	s_mul_i32 s7, s7, s4
	s_mul_i32 s21, s21, s6
	s_wait_xcnt 0x0
	s_add_co_i32 s0, s24, s7
	s_add_co_i32 s1, s25, s21
	s_mul_i32 s0, s0, s5
	s_add_co_i32 s15, s15, s3
	s_add_co_i32 s1, s1, s0
	v_cvt_f32_u32_e32 v1, s16
	v_lshl_or_b32 v4, s1, 6, v0
	s_add_nc_u64 s[0:1], s[16:17], 0
	s_lshl_b32 s24, s16, 2
	s_xor_b64 s[6:7], s[0:1], 0
	s_add_co_i32 s0, s15, s2
	s_cvt_f32_u32 s3, s6
	s_cvt_f32_u32 s4, s7
	s_ashr_i32 s1, s0, 31
	v_rcp_iflag_f32_e32 v1, v1
	s_lshl_b64 s[0:1], s[0:1], 3
	s_fmamk_f32 s3, s4, 0x4f800000, s3
	s_wait_kmcnt 0x0
	global_load_b32 v3, v4, s[8:9] scale_offset
	s_add_nc_u64 s[0:1], s[10:11], s[0:1]
	s_mov_b32 s25, 0
	v_s_rcp_f32 s3, s3
	s_load_b64 s[28:29], s[0:1], 0x0
	v_ashrrev_i32_e32 v5, 31, v4
	s_wait_xcnt 0x0
	s_lshl_b64 s[0:1], s[24:25], 2
	v_mul_f32_e32 v1, 0x4f7ffffe, v1
	s_add_nc_u64 s[26:27], s[10:11], s[0:1]
	s_add_co_i32 s36, s2, -1
	s_sub_nc_u64 s[34:35], 0, s[6:7]
	s_mul_f32 s3, s3, 0x5f7ffffc
	v_cvt_u32_f32_e32 v1, v1
	s_delay_alu instid0(SALU_CYCLE_2) | instskip(NEXT) | instid1(SALU_CYCLE_3)
	s_mul_f32 s4, s3, 0x2f800000
	s_trunc_f32 s4, s4
	s_delay_alu instid0(SALU_CYCLE_3)
	s_fmamk_f32 s0, s4, 0xcf800000, s3
	s_wait_kmcnt 0x0
	v_mov_b32_e32 v2, s29
	v_lshl_add_u64 v[4:5], v[4:5], 2, s[8:9]
	s_cvt_u32_f32 s31, s4
	s_cvt_u32_f32 s30, s0
	s_mov_b64 s[8:9], 0xffffffff
.LBB3_9:                                ; =>This Inner Loop Header: Depth=1
	s_ashr_i32 s37, s36, 31
                                        ; implicit-def: $sgpr40_sgpr41
	s_delay_alu instid0(SALU_CYCLE_1) | instskip(NEXT) | instid1(SALU_CYCLE_1)
	s_mul_u64 s[0:1], s[36:37], s[18:19]
	s_and_b64 s[2:3], s[0:1], 0xffffffff00000000
	s_delay_alu instid0(SALU_CYCLE_1)
	s_cmp_lg_u64 s[2:3], 0
	s_mov_b32 s2, -1
	s_cbranch_scc0 .LBB3_11
; %bb.10:                               ;   in Loop: Header=BB3_9 Depth=1
	s_mul_u64 s[2:3], s[34:35], s[30:31]
	s_delay_alu instid0(SALU_CYCLE_1)
	s_mul_hi_u32 s5, s30, s3
	s_mul_i32 s4, s30, s3
	s_mul_hi_u32 s24, s30, s2
	s_mul_hi_u32 s17, s31, s2
	s_add_nc_u64 s[4:5], s[24:25], s[4:5]
	s_mul_i32 s2, s31, s2
	s_mul_hi_u32 s21, s31, s3
	s_add_co_u32 s2, s4, s2
	s_add_co_ci_u32 s24, s5, s17
	s_add_co_ci_u32 s5, s21, 0
	s_mul_i32 s4, s31, s3
	s_delay_alu instid0(SALU_CYCLE_1) | instskip(NEXT) | instid1(SALU_CYCLE_1)
	s_add_nc_u64 s[2:3], s[24:25], s[4:5]
	s_add_co_u32 s2, s30, s2
	s_cselect_b32 s4, -1, 0
	s_delay_alu instid0(SALU_CYCLE_1) | instskip(SKIP_1) | instid1(SALU_CYCLE_1)
	s_cmp_lg_u32 s4, 0
	s_add_co_ci_u32 s3, s31, s3
	s_mul_u64 s[4:5], s[34:35], s[2:3]
	s_delay_alu instid0(SALU_CYCLE_1)
	s_mul_hi_u32 s39, s2, s5
	s_mul_i32 s38, s2, s5
	s_mul_hi_u32 s24, s2, s4
	s_mul_hi_u32 s17, s3, s4
	s_mul_i32 s4, s3, s4
	s_add_nc_u64 s[38:39], s[24:25], s[38:39]
	s_mul_hi_u32 s21, s3, s5
	s_add_co_u32 s4, s38, s4
	s_add_co_ci_u32 s24, s39, s17
	s_mul_i32 s4, s3, s5
	s_add_co_ci_u32 s5, s21, 0
	s_delay_alu instid0(SALU_CYCLE_1) | instskip(NEXT) | instid1(SALU_CYCLE_1)
	s_add_nc_u64 s[4:5], s[24:25], s[4:5]
	s_add_co_u32 s17, s2, s4
	s_cselect_b32 s2, -1, 0
	s_delay_alu instid0(SALU_CYCLE_1) | instskip(SKIP_2) | instid1(SALU_CYCLE_1)
	s_cmp_lg_u32 s2, 0
	s_add_co_ci_u32 s21, s3, s5
	s_ashr_i32 s2, s1, 31
	s_mov_b32 s3, s2
	s_delay_alu instid0(SALU_CYCLE_1) | instskip(NEXT) | instid1(SALU_CYCLE_1)
	s_add_nc_u64 s[4:5], s[0:1], s[2:3]
	s_xor_b64 s[4:5], s[4:5], s[2:3]
	s_delay_alu instid0(SALU_CYCLE_1)
	s_mul_hi_u32 s39, s4, s21
	s_mul_i32 s38, s4, s21
	s_mul_hi_u32 s24, s4, s17
	s_mul_hi_u32 s29, s5, s17
	s_mul_i32 s17, s5, s17
	s_add_nc_u64 s[38:39], s[24:25], s[38:39]
	s_mul_hi_u32 s1, s5, s21
	s_add_co_u32 s17, s38, s17
	s_add_co_ci_u32 s24, s39, s29
	s_mul_i32 s40, s5, s21
	s_add_co_ci_u32 s41, s1, 0
	s_delay_alu instid0(SALU_CYCLE_1) | instskip(NEXT) | instid1(SALU_CYCLE_1)
	s_add_nc_u64 s[38:39], s[24:25], s[40:41]
	s_and_b64 s[40:41], s[38:39], 0xffffffff00000000
	s_delay_alu instid0(SALU_CYCLE_1) | instskip(NEXT) | instid1(SALU_CYCLE_1)
	s_or_b32 s40, s40, s38
	s_mul_u64 s[38:39], s[6:7], s[40:41]
	s_add_nc_u64 s[42:43], s[40:41], 1
	s_sub_co_u32 s1, s4, s38
	s_cselect_b32 s4, -1, 0
	s_sub_co_i32 s17, s5, s39
	s_cmp_lg_u32 s4, 0
	s_add_nc_u64 s[44:45], s[40:41], 2
	s_sub_co_ci_u32 s17, s17, s7
	s_sub_co_u32 s21, s1, s6
	s_cselect_b32 s24, -1, 0
	s_delay_alu instid0(SALU_CYCLE_1) | instskip(SKIP_1) | instid1(SALU_CYCLE_1)
	s_cmp_lg_u32 s24, 0
	s_sub_co_ci_u32 s17, s17, 0
	s_cmp_ge_u32 s17, s7
	s_cselect_b32 s24, -1, 0
	s_cmp_ge_u32 s21, s6
	s_cselect_b32 s21, -1, 0
	s_cmp_eq_u32 s17, s7
	s_cselect_b32 s17, s21, s24
	s_delay_alu instid0(SALU_CYCLE_1) | instskip(SKIP_4) | instid1(SALU_CYCLE_1)
	s_cmp_lg_u32 s17, 0
	s_cselect_b32 s17, s44, s42
	s_cselect_b32 s21, s45, s43
	s_cmp_lg_u32 s4, 0
	s_sub_co_ci_u32 s4, s5, s39
	s_cmp_ge_u32 s4, s7
	s_cselect_b32 s5, -1, 0
	s_cmp_ge_u32 s1, s6
	s_cselect_b32 s1, -1, 0
	s_cmp_eq_u32 s4, s7
	s_cselect_b32 s1, s1, s5
	s_delay_alu instid0(SALU_CYCLE_1) | instskip(SKIP_3) | instid1(SALU_CYCLE_1)
	s_cmp_lg_u32 s1, 0
	s_cselect_b32 s5, s21, s41
	s_cselect_b32 s4, s17, s40
	s_xor_b64 s[2:3], s[2:3], 0
	s_xor_b64 s[4:5], s[4:5], s[2:3]
	s_delay_alu instid0(SALU_CYCLE_1)
	s_sub_nc_u64 s[40:41], s[4:5], s[2:3]
	s_mov_b32 s2, 0
.LBB3_11:                               ;   in Loop: Header=BB3_9 Depth=1
	s_delay_alu instid0(SALU_CYCLE_1)
	s_and_not1_b32 vcc_lo, exec_lo, s2
	s_cbranch_vccnz .LBB3_13
; %bb.12:                               ;   in Loop: Header=BB3_9 Depth=1
	v_readfirstlane_b32 s1, v1
	s_sub_co_i32 s2, 0, s16
	s_delay_alu instid0(SALU_CYCLE_1) | instskip(NEXT) | instid1(SALU_CYCLE_1)
	s_mul_i32 s2, s2, s1
	s_mul_hi_u32 s2, s1, s2
	s_delay_alu instid0(SALU_CYCLE_1) | instskip(NEXT) | instid1(SALU_CYCLE_1)
	s_add_co_i32 s1, s1, s2
	s_mul_hi_u32 s1, s0, s1
	s_delay_alu instid0(SALU_CYCLE_1) | instskip(NEXT) | instid1(SALU_CYCLE_1)
	s_mul_i32 s2, s1, s16
	s_sub_co_i32 s0, s0, s2
	s_add_co_i32 s2, s1, 1
	s_sub_co_i32 s3, s0, s16
	s_cmp_ge_u32 s0, s16
	s_cselect_b32 s1, s2, s1
	s_cselect_b32 s0, s3, s0
	s_add_co_i32 s2, s1, 1
	s_cmp_ge_u32 s0, s16
	s_cselect_b32 s24, s2, s1
	s_delay_alu instid0(SALU_CYCLE_1)
	s_mov_b64 s[40:41], s[24:25]
.LBB3_13:                               ;   in Loop: Header=BB3_9 Depth=1
	s_delay_alu instid0(SALU_CYCLE_1)
	s_cmp_lg_u32 s20, s40
	s_mov_b32 s0, -1
                                        ; implicit-def: $vgpr6_vgpr7
                                        ; implicit-def: $sgpr24
                                        ; implicit-def: $sgpr17
                                        ; implicit-def: $sgpr21
                                        ; implicit-def: $sgpr29
	s_cbranch_scc0 .LBB3_18
; %bb.14:                               ;   in Loop: Header=BB3_9 Depth=1
	s_add_co_i32 s42, s36, s15
	v_max_num_f32_e64 v6, s28, s28
	s_add_co_i32 s0, s42, s16
	s_mov_b32 s29, s20
	s_load_b64 s[38:39], s[10:11], s0 offset:0x0 scale_offset
	s_wait_xcnt 0x0
	v_readfirstlane_b32 s0, v6
	s_wait_kmcnt 0x0
	v_max_num_f32_e64 v7, s38, s38
	s_delay_alu instid0(VALU_DEP_1) | instskip(SKIP_1) | instid1(SALU_CYCLE_3)
	v_readfirstlane_b32 s1, v7
	s_max_num_f32 s17, s0, s1
	s_sub_f32 s33, s28, s17
	s_sub_f32 s37, s38, s17
	s_delay_alu instid0(SALU_CYCLE_2)
	s_cmp_nlt_f32 s33, 0xc2ce8ed0
	s_cselect_b32 s1, -1, 0
	s_cmp_ngt_f32 s33, 0x42b17218
	s_cselect_b32 s2, -1, 0
	s_cmp_ge_f32 s33, 0xc1a00000
	s_cselect_b32 s0, -1, 0
	s_cmp_nlt_f32 s37, 0xc2ce8ed0
	s_cselect_b32 s3, -1, 0
	s_cmp_ngt_f32 s37, 0x42b17218
	s_cselect_b32 s4, -1, 0
	s_cmp_ge_f32 s37, 0xc1a00000
	s_cselect_b32 s5, -1, 0
	s_and_b64 s[44:45], s[40:41], s[8:9]
	s_delay_alu instid0(SALU_CYCLE_1) | instskip(NEXT) | instid1(SALU_CYCLE_1)
	s_mul_u64 s[44:45], s[44:45], s[22:23]
	s_add_co_i32 s21, s45, s40
	s_delay_alu instid0(SALU_CYCLE_1) | instskip(NEXT) | instid1(SALU_CYCLE_1)
	s_lshr_b32 s21, s21, s13
	s_mul_i32 s24, s21, s14
	s_delay_alu instid0(SALU_CYCLE_1) | instskip(SKIP_3) | instid1(SALU_CYCLE_1)
	s_cmp_eq_u32 s24, s40
	s_cselect_b32 s24, -1, 0
	s_cmp_lt_u32 s21, s12
	s_cselect_b32 s21, -1, 0
	s_or_b32 s21, s21, s24
	s_mov_b32 s24, -1
	s_and_b32 vcc_lo, exec_lo, s21
	s_mov_b32 s21, s36
	s_cbranch_vccnz .LBB3_16
; %bb.15:                               ;   in Loop: Header=BB3_9 Depth=1
	s_add_co_i32 s21, s36, -1
	s_mov_b32 s24, 0
	s_mov_b32 s29, s40
.LBB3_16:                               ;   in Loop: Header=BB3_9 Depth=1
	v_lshl_or_b32 v6, s42, 6, v0
	s_mul_f32 s38, s37, 0x3fb8aa3b
	s_mul_f32 s40, s33, 0x3fb8aa3b
	s_delay_alu instid0(SALU_CYCLE_2)
	s_xor_b32 s41, s38, 0x80000000
	global_load_b32 v7, v6, s[26:27] scale_offset
	s_fmamk_f32 s41, s37, 0x3fb8aa3b, s41
	s_rndne_f32 s43, s38
	s_xor_b32 s42, s40, 0x80000000
	s_rndne_f32 s44, s40
	s_fmamk_f32 s37, s37, 0x32a5705f, s41
	s_sub_f32 s38, s38, s43
	s_fmamk_f32 s42, s33, 0x3fb8aa3b, s42
	s_sub_f32 s40, s40, s44
	s_delay_alu instid0(SALU_CYCLE_1) | instskip(NEXT) | instid1(SALU_CYCLE_1)
	s_add_f32 s37, s38, s37
	s_fmamk_f32 s33, s33, 0x32a5705f, s42
	s_cvt_i32_f32 s38, s43
	s_delay_alu instid0(SALU_CYCLE_1) | instskip(NEXT) | instid1(SALU_CYCLE_1)
	v_s_exp_f32 s37, s37
	s_add_f32 s33, s40, s33
	s_cvt_i32_f32 s40, s44
	s_delay_alu instid0(SALU_CYCLE_2) | instskip(SKIP_1) | instid1(TRANS32_DEP_2)
	v_s_exp_f32 s33, s33
	s_wait_xcnt 0x0
	v_ldexp_f32 v6, s37, s38
	s_delay_alu instid0(TRANS32_DEP_1) | instskip(NEXT) | instid1(VALU_DEP_1)
	v_ldexp_f32 v8, s33, s40
	v_dual_cndmask_b32 v6, 0, v6, s3 :: v_dual_cndmask_b32 v8, 0, v8, s1
	s_delay_alu instid0(VALU_DEP_1) | instskip(NEXT) | instid1(VALU_DEP_2)
	v_cndmask_b32_e64 v6, 0x7f800000, v6, s4
	v_cndmask_b32_e64 v9, 0x7f800000, v8, s2
	s_delay_alu instid0(VALU_DEP_2) | instskip(NEXT) | instid1(VALU_DEP_2)
	v_dual_cndmask_b32 v8, 0, v6, s5 :: v_dual_mov_b32 v6, s39
	v_cndmask_b32_e64 v10, 0, v9, s0
	s_wait_loadcnt 0x0
	s_delay_alu instid0(VALU_DEP_2) | instskip(NEXT) | instid1(VALU_DEP_1)
	v_pk_mul_f32 v[6:7], v[6:7], v[8:9] op_sel_hi:[1,0]
	v_pk_fma_f32 v[6:7], v[2:3], v[10:11], v[6:7] op_sel_hi:[1,0,1]
	s_cbranch_execz .LBB3_19
.LBB3_17:                               ;   in Loop: Header=BB3_9 Depth=1
	s_and_not1_b32 vcc_lo, exec_lo, s24
	s_cbranch_vccnz .LBB3_20
	s_branch .LBB3_23
.LBB3_18:                               ;   in Loop: Header=BB3_9 Depth=1
	s_and_not1_b32 vcc_lo, exec_lo, s0
	s_cbranch_vccnz .LBB3_17
.LBB3_19:                               ;   in Loop: Header=BB3_9 Depth=1
	s_wait_loadcnt 0x0
	v_mov_b64_e32 v[6:7], v[2:3]
	s_add_co_i32 s21, s36, -1
	s_mov_b32 s29, s20
	s_mov_b32 s17, s28
	s_cbranch_execz .LBB3_23
.LBB3_20:                               ;   in Loop: Header=BB3_9 Depth=1
	s_wait_loadcnt 0x0
	s_delay_alu instid0(VALU_DEP_1)
	v_mov_b64_e32 v[2:3], v[6:7]
	s_mov_b32 s20, s29
	s_mov_b32 s36, s21
	s_mov_b32 s28, s17
	s_branch .LBB3_9
.LBB3_21:
                                        ; implicit-def: $sgpr20_sgpr21
	s_branch .LBB3_2
.LBB3_22:
                                        ; implicit-def: $sgpr24_sgpr25
	s_load_b96 s[12:14], s[0:1], 0x44
	s_branch .LBB3_5
.LBB3_23:
	s_delay_alu instid0(VALU_DEP_1) | instskip(NEXT) | instid1(VALU_DEP_1)
	v_div_scale_f32 v0, null, v6, v6, v7
	v_rcp_f32_e32 v1, v0
	v_nop
	s_delay_alu instid0(TRANS32_DEP_1) | instskip(NEXT) | instid1(VALU_DEP_1)
	v_fma_f32 v2, -v0, v1, 1.0
	v_fmac_f32_e32 v1, v2, v1
	v_div_scale_f32 v2, vcc_lo, v7, v6, v7
	s_wait_loadcnt 0x0
	s_delay_alu instid0(VALU_DEP_1) | instskip(NEXT) | instid1(VALU_DEP_1)
	v_mul_f32_e32 v3, v2, v1
	v_fma_f32 v8, -v0, v3, v2
	s_delay_alu instid0(VALU_DEP_1) | instskip(NEXT) | instid1(VALU_DEP_1)
	v_fmac_f32_e32 v3, v8, v1
	v_fma_f32 v0, -v0, v3, v2
	s_delay_alu instid0(VALU_DEP_1) | instskip(NEXT) | instid1(VALU_DEP_1)
	v_div_fmas_f32 v0, v0, v1, v3
	v_div_fixup_f32 v0, v0, v6, v7
	global_store_b32 v[4:5], v0, off
.LBB3_24:
	s_endpgm
	.section	.rodata,"a",@progbits
	.p2align	6, 0x0
	.amdhsa_kernel _ZL33flash_attn_stream_k_fixup_generalILi64ELi1ELi1EEvPfPK15HIP_vector_typeIfLj2EEiiiiS1_IjLj3EES5_S5_S5_
		.amdhsa_group_segment_fixed_size 0
		.amdhsa_private_segment_fixed_size 0
		.amdhsa_kernarg_size 336
		.amdhsa_user_sgpr_count 2
		.amdhsa_user_sgpr_dispatch_ptr 0
		.amdhsa_user_sgpr_queue_ptr 0
		.amdhsa_user_sgpr_kernarg_segment_ptr 1
		.amdhsa_user_sgpr_dispatch_id 0
		.amdhsa_user_sgpr_kernarg_preload_length 0
		.amdhsa_user_sgpr_kernarg_preload_offset 0
		.amdhsa_user_sgpr_private_segment_size 0
		.amdhsa_wavefront_size32 1
		.amdhsa_uses_dynamic_stack 0
		.amdhsa_enable_private_segment 0
		.amdhsa_system_sgpr_workgroup_id_x 1
		.amdhsa_system_sgpr_workgroup_id_y 1
		.amdhsa_system_sgpr_workgroup_id_z 1
		.amdhsa_system_sgpr_workgroup_info 0
		.amdhsa_system_vgpr_workitem_id 0
		.amdhsa_next_free_vgpr 12
		.amdhsa_next_free_sgpr 46
		.amdhsa_named_barrier_count 0
		.amdhsa_reserve_vcc 1
		.amdhsa_float_round_mode_32 0
		.amdhsa_float_round_mode_16_64 0
		.amdhsa_float_denorm_mode_32 3
		.amdhsa_float_denorm_mode_16_64 3
		.amdhsa_fp16_overflow 0
		.amdhsa_memory_ordered 1
		.amdhsa_forward_progress 1
		.amdhsa_inst_pref_size 26
		.amdhsa_round_robin_scheduling 0
		.amdhsa_exception_fp_ieee_invalid_op 0
		.amdhsa_exception_fp_denorm_src 0
		.amdhsa_exception_fp_ieee_div_zero 0
		.amdhsa_exception_fp_ieee_overflow 0
		.amdhsa_exception_fp_ieee_underflow 0
		.amdhsa_exception_fp_ieee_inexact 0
		.amdhsa_exception_int_div_zero 0
	.end_amdhsa_kernel
	.section	.text._ZL33flash_attn_stream_k_fixup_generalILi64ELi1ELi1EEvPfPK15HIP_vector_typeIfLj2EEiiiiS1_IjLj3EES5_S5_S5_,"axG",@progbits,_ZL33flash_attn_stream_k_fixup_generalILi64ELi1ELi1EEvPfPK15HIP_vector_typeIfLj2EEiiiiS1_IjLj3EES5_S5_S5_,comdat
.Lfunc_end3:
	.size	_ZL33flash_attn_stream_k_fixup_generalILi64ELi1ELi1EEvPfPK15HIP_vector_typeIfLj2EEiiiiS1_IjLj3EES5_S5_S5_, .Lfunc_end3-_ZL33flash_attn_stream_k_fixup_generalILi64ELi1ELi1EEvPfPK15HIP_vector_typeIfLj2EEiiiiS1_IjLj3EES5_S5_S5_
                                        ; -- End function
	.set _ZL33flash_attn_stream_k_fixup_generalILi64ELi1ELi1EEvPfPK15HIP_vector_typeIfLj2EEiiiiS1_IjLj3EES5_S5_S5_.num_vgpr, 12
	.set _ZL33flash_attn_stream_k_fixup_generalILi64ELi1ELi1EEvPfPK15HIP_vector_typeIfLj2EEiiiiS1_IjLj3EES5_S5_S5_.num_agpr, 0
	.set _ZL33flash_attn_stream_k_fixup_generalILi64ELi1ELi1EEvPfPK15HIP_vector_typeIfLj2EEiiiiS1_IjLj3EES5_S5_S5_.numbered_sgpr, 46
	.set _ZL33flash_attn_stream_k_fixup_generalILi64ELi1ELi1EEvPfPK15HIP_vector_typeIfLj2EEiiiiS1_IjLj3EES5_S5_S5_.num_named_barrier, 0
	.set _ZL33flash_attn_stream_k_fixup_generalILi64ELi1ELi1EEvPfPK15HIP_vector_typeIfLj2EEiiiiS1_IjLj3EES5_S5_S5_.private_seg_size, 0
	.set _ZL33flash_attn_stream_k_fixup_generalILi64ELi1ELi1EEvPfPK15HIP_vector_typeIfLj2EEiiiiS1_IjLj3EES5_S5_S5_.uses_vcc, 1
	.set _ZL33flash_attn_stream_k_fixup_generalILi64ELi1ELi1EEvPfPK15HIP_vector_typeIfLj2EEiiiiS1_IjLj3EES5_S5_S5_.uses_flat_scratch, 0
	.set _ZL33flash_attn_stream_k_fixup_generalILi64ELi1ELi1EEvPfPK15HIP_vector_typeIfLj2EEiiiiS1_IjLj3EES5_S5_S5_.has_dyn_sized_stack, 0
	.set _ZL33flash_attn_stream_k_fixup_generalILi64ELi1ELi1EEvPfPK15HIP_vector_typeIfLj2EEiiiiS1_IjLj3EES5_S5_S5_.has_recursion, 0
	.set _ZL33flash_attn_stream_k_fixup_generalILi64ELi1ELi1EEvPfPK15HIP_vector_typeIfLj2EEiiiiS1_IjLj3EES5_S5_S5_.has_indirect_call, 0
	.section	.AMDGPU.csdata,"",@progbits
; Kernel info:
; codeLenInByte = 3308
; TotalNumSgprs: 48
; NumVgprs: 12
; ScratchSize: 0
; MemoryBound: 0
; FloatMode: 240
; IeeeMode: 1
; LDSByteSize: 0 bytes/workgroup (compile time only)
; SGPRBlocks: 0
; VGPRBlocks: 0
; NumSGPRsForWavesPerEU: 48
; NumVGPRsForWavesPerEU: 12
; NamedBarCnt: 0
; Occupancy: 16
; WaveLimiterHint : 0
; COMPUTE_PGM_RSRC2:SCRATCH_EN: 0
; COMPUTE_PGM_RSRC2:USER_SGPR: 2
; COMPUTE_PGM_RSRC2:TRAP_HANDLER: 0
; COMPUTE_PGM_RSRC2:TGID_X_EN: 1
; COMPUTE_PGM_RSRC2:TGID_Y_EN: 1
; COMPUTE_PGM_RSRC2:TGID_Z_EN: 1
; COMPUTE_PGM_RSRC2:TIDIG_COMP_CNT: 0
	.section	.text._ZL26flash_attn_combine_resultsILi64EEvPKfPK15HIP_vector_typeIfLj2EEPfi,"axG",@progbits,_ZL26flash_attn_combine_resultsILi64EEvPKfPK15HIP_vector_typeIfLj2EEPfi,comdat
	.globl	_ZL26flash_attn_combine_resultsILi64EEvPKfPK15HIP_vector_typeIfLj2EEPfi ; -- Begin function _ZL26flash_attn_combine_resultsILi64EEvPKfPK15HIP_vector_typeIfLj2EEPfi
	.p2align	8
	.type	_ZL26flash_attn_combine_resultsILi64EEvPKfPK15HIP_vector_typeIfLj2EEPfi,@function
_ZL26flash_attn_combine_resultsILi64EEvPKfPK15HIP_vector_typeIfLj2EEPfi: ; @_ZL26flash_attn_combine_resultsILi64EEvPKfPK15HIP_vector_typeIfLj2EEPfi
; %bb.0:
	s_clause 0x2
	s_load_b128 s[4:7], s[0:1], 0x0
	s_load_b96 s[8:10], s[0:1], 0x10
	s_load_b64 s[2:3], s[0:1], 0x20
	s_bfe_u32 s11, ttmp6, 0x4000c
	s_wait_xcnt 0x0
	s_and_b32 s0, ttmp6, 15
	s_add_co_i32 s11, s11, 1
	s_and_b32 s12, ttmp7, 0xffff
	s_mul_i32 s1, ttmp9, s11
	s_bfe_u32 s11, ttmp6, 0x40010
	s_bfe_u32 s13, ttmp6, 0x40014
	s_add_co_i32 s11, s11, 1
	s_add_co_i32 s0, s0, s1
	s_mul_i32 s1, s12, s11
	s_bfe_u32 s11, ttmp6, 0x40004
	s_lshr_b32 s14, ttmp7, 16
	s_add_co_i32 s13, s13, 1
	s_add_co_i32 s11, s11, s1
	s_mul_i32 s1, s14, s13
	s_bfe_u32 s13, ttmp6, 0x40008
	s_getreg_b32 s15, hwreg(HW_REG_IB_STS2, 6, 4)
	s_add_co_i32 s13, s13, s1
	s_cmp_eq_u32 s15, 0
	v_mov_b32_e32 v2, v0
	s_cselect_b32 s1, s14, s13
	s_cselect_b32 s0, ttmp9, s0
	s_wait_kmcnt 0x0
	s_mul_i32 s1, s2, s1
	s_cselect_b32 s2, s12, s11
	s_add_co_i32 s0, s1, s0
	s_lshl_b32 s12, s10, 1
	s_mul_i32 s11, s0, s3
	s_mov_b32 s13, exec_lo
	s_add_co_i32 s11, s11, s2
	s_delay_alu instid0(SALU_CYCLE_1)
	s_mul_i32 s2, s11, s10
	v_cmpx_gt_i32_e64 s12, v0
	s_cbranch_execz .LBB4_13
; %bb.1:
	v_xad_u32 v1, v0, -1, s12
	s_ashr_i32 s3, s2, 31
	s_mov_b32 s0, -1
	s_mov_b32 s14, exec_lo
	s_delay_alu instid0(VALU_DEP_1)
	v_cmpx_lt_u32_e32 63, v1
	s_cbranch_execz .LBB4_10
; %bb.2:
	v_lshrrev_b32_e32 v6, 6, v1
	s_lshl_b64 s[0:1], s[2:3], 3
	v_or_b32_e32 v1, 64, v0
	s_add_nc_u64 s[0:1], s[6:7], s[0:1]
	s_delay_alu instid0(VALU_DEP_2) | instskip(NEXT) | instid1(VALU_DEP_1)
	v_add_nc_u32_e32 v2, -1, v6
	v_dual_mov_b32 v4, 0 :: v_dual_lshrrev_b32 v3, 1, v2
	v_cmp_lt_u32_e32 vcc_lo, 13, v2
	s_delay_alu instid0(VALU_DEP_2)
	v_add_nc_u32_e32 v7, 1, v3
	v_mov_b64_e32 v[2:3], v[0:1]
	s_and_saveexec_b32 s15, vcc_lo
	s_cbranch_execz .LBB4_6
; %bb.3:
	v_mov_b64_e32 v[2:3], v[0:1]
	v_dual_mov_b32 v5, 0 :: v_dual_bitop2_b32 v8, -8, v7 bitop3:0x40
	v_lshl_add_u32 v9, v0, 2, 0
	s_mov_b32 s16, 0
	s_mov_b32 s17, 0
.LBB4_4:                                ; =>This Inner Loop Header: Depth=1
	s_delay_alu instid0(VALU_DEP_2) | instskip(NEXT) | instid1(VALU_DEP_4)
	v_dual_mov_b32 v4, v2 :: v_dual_mov_b32 v11, v5
	v_dual_mov_b32 v13, v5 :: v_dual_add_nc_u32 v10, 0x80, v3
	v_dual_mov_b32 v15, v5 :: v_dual_add_nc_u32 v12, 0x100, v3
	s_delay_alu instid0(VALU_DEP_3) | instskip(SKIP_1) | instid1(VALU_DEP_4)
	v_lshl_add_u64 v[24:25], v[4:5], 2, s[0:1]
	v_dual_mov_b32 v4, v3 :: v_dual_add_nc_u32 v8, -8, v8
	v_lshl_add_u64 v[10:11], v[10:11], 2, s[0:1]
	v_dual_mov_b32 v17, v5 :: v_dual_add_nc_u32 v14, 0x180, v3
	s_delay_alu instid0(VALU_DEP_3)
	v_lshl_add_u64 v[26:27], v[4:5], 2, s[0:1]
	v_add_nc_u32_e32 v4, 0x80, v2
	global_load_b32 v1, v[24:25], off
	v_lshl_add_u64 v[12:13], v[12:13], 2, s[0:1]
	v_dual_mov_b32 v19, v5 :: v_dual_add_nc_u32 v16, 0x200, v3
	global_load_b32 v28, v[26:27], off
	s_wait_xcnt 0x1
	v_lshl_add_u64 v[24:25], v[4:5], 2, s[0:1]
	v_add_nc_u32_e32 v4, 0x100, v2
	s_clause 0x1
	global_load_b32 v29, v[24:25], off
	global_load_b32 v30, v[10:11], off
	s_wait_xcnt 0x2
	v_lshl_add_u64 v[26:27], v[4:5], 2, s[0:1]
	v_add_nc_u32_e32 v4, 0x180, v2
	s_clause 0x1
	global_load_b32 v24, v[26:27], off
	global_load_b32 v25, v[12:13], off
	s_wait_xcnt 0x2
	v_lshl_add_u64 v[10:11], v[4:5], 2, s[0:1]
	v_add_nc_u32_e32 v4, 0x200, v2
	v_lshl_add_u64 v[14:15], v[14:15], 2, s[0:1]
	s_clause 0x1
	global_load_b32 v26, v[10:11], off
	global_load_b32 v27, v[14:15], off
	s_wait_xcnt 0x2
	v_lshl_add_u64 v[12:13], v[4:5], 2, s[0:1]
	v_add_nc_u32_e32 v4, 0x280, v2
	v_dual_mov_b32 v21, v5 :: v_dual_add_nc_u32 v18, 0x280, v3
	v_lshl_add_u64 v[16:17], v[16:17], 2, s[0:1]
	v_dual_mov_b32 v23, v5 :: v_dual_add_nc_u32 v20, 0x300, v3
	s_wait_xcnt 0x1
	v_lshl_add_u64 v[10:11], v[4:5], 2, s[0:1]
	v_add_nc_u32_e32 v4, 0x300, v2
	s_clause 0x1
	global_load_b32 v14, v[12:13], off
	global_load_b32 v15, v[16:17], off
	v_add_nc_u32_e32 v22, 0x380, v3
	v_lshl_add_u64 v[18:19], v[18:19], 2, s[0:1]
	v_lshl_add_u64 v[20:21], v[20:21], 2, s[0:1]
	s_wait_xcnt 0x1
	v_lshl_add_u64 v[12:13], v[4:5], 2, s[0:1]
	v_add_nc_u32_e32 v4, 0x380, v2
	s_clause 0x1
	global_load_b32 v16, v[10:11], off
	global_load_b32 v17, v[18:19], off
	v_lshl_add_u64 v[22:23], v[22:23], 2, s[0:1]
	s_add_co_i32 s17, s17, 16
	v_cmp_eq_u32_e32 vcc_lo, 0, v8
	s_wait_xcnt 0x1
	v_lshl_add_u64 v[10:11], v[4:5], 2, s[0:1]
	s_clause 0x3
	global_load_b32 v18, v[12:13], off
	global_load_b32 v19, v[20:21], off
	;; [unrolled: 1-line block ×4, first 2 shown]
	v_dual_mov_b32 v4, s17 :: v_dual_add_nc_u32 v3, 0x400, v3
	v_add_nc_u32_e32 v2, 0x400, v2
	s_or_b32 s16, vcc_lo, s16
	s_wait_loadcnt 0xe
	ds_store_2addr_stride64_b32 v9, v1, v28 offset1:1
	s_wait_loadcnt 0xc
	ds_store_2addr_stride64_b32 v9, v29, v30 offset0:2 offset1:3
	s_wait_loadcnt 0xa
	ds_store_2addr_stride64_b32 v9, v24, v25 offset0:4 offset1:5
	;; [unrolled: 2-line block ×7, first 2 shown]
	v_add_nc_u32_e32 v9, 0x1000, v9
	s_wait_xcnt 0x0
	s_and_not1_b32 exec_lo, exec_lo, s16
	s_cbranch_execnz .LBB4_4
; %bb.5:
	s_or_b32 exec_lo, exec_lo, s16
.LBB4_6:
	s_delay_alu instid0(SALU_CYCLE_1) | instskip(SKIP_3) | instid1(VALU_DEP_1)
	s_or_b32 exec_lo, exec_lo, s15
	v_and_b32_e32 v1, 7, v7
	s_mov_b32 s16, 0
	s_mov_b32 s15, exec_lo
	v_cmpx_ne_u32_e32 0, v1
	s_cbranch_execz .LBB4_9
; %bb.7:
	v_lshlrev_b32_e32 v5, 2, v0
	s_delay_alu instid0(VALU_DEP_1) | instskip(NEXT) | instid1(VALU_DEP_1)
	v_lshl_or_b32 v4, v4, 8, v5
	v_dual_mov_b32 v5, 0 :: v_dual_add_nc_u32 v7, 0, v4
.LBB4_8:                                ; =>This Inner Loop Header: Depth=1
	v_dual_mov_b32 v4, v2 :: v_dual_add_nc_u32 v1, -1, v1
	v_add_nc_u32_e32 v2, 0x80, v2
	s_delay_alu instid0(VALU_DEP_2) | instskip(SKIP_1) | instid1(VALU_DEP_4)
	v_lshl_add_u64 v[8:9], v[4:5], 2, s[0:1]
	v_dual_mov_b32 v4, v3 :: v_dual_add_nc_u32 v3, 0x80, v3
	v_cmp_eq_u32_e32 vcc_lo, 0, v1
	s_delay_alu instid0(VALU_DEP_2)
	v_lshl_add_u64 v[10:11], v[4:5], 2, s[0:1]
	s_clause 0x1
	global_load_b32 v4, v[8:9], off
	global_load_b32 v12, v[10:11], off
	s_or_b32 s16, vcc_lo, s16
	s_wait_loadcnt 0x0
	ds_store_2addr_stride64_b32 v7, v4, v12 offset1:1
	v_add_nc_u32_e32 v7, 0x200, v7
	s_and_not1_b32 exec_lo, exec_lo, s16
	s_cbranch_execnz .LBB4_8
.LBB4_9:
	s_or_b32 exec_lo, exec_lo, s15
	v_add_nc_u32_e32 v1, 1, v6
	s_delay_alu instid0(VALU_DEP_1) | instskip(NEXT) | instid1(VALU_DEP_1)
	v_and_b32_e32 v2, 0x7fffffe, v1
	v_cmp_ne_u32_e32 vcc_lo, v1, v2
	v_lshl_or_b32 v2, v2, 6, v0
	s_or_not1_b32 s0, vcc_lo, exec_lo
.LBB4_10:
	s_or_b32 exec_lo, exec_lo, s14
	s_delay_alu instid0(SALU_CYCLE_1)
	s_and_b32 exec_lo, exec_lo, s0
	s_cbranch_execz .LBB4_13
; %bb.11:
	v_mov_b32_e32 v3, 0
	s_lshl_b64 s[0:1], s[2:3], 3
	v_lshl_add_u32 v1, v2, 2, 0
	s_add_nc_u64 s[0:1], s[6:7], s[0:1]
	s_delay_alu instid0(VALU_DEP_2) | instid1(SALU_CYCLE_1)
	v_lshl_add_u64 v[4:5], v[2:3], 2, s[0:1]
	s_mov_b32 s0, 0
.LBB4_12:                               ; =>This Inner Loop Header: Depth=1
	global_load_b32 v3, v[4:5], off
	v_add_nc_u32_e32 v2, 64, v2
	s_wait_xcnt 0x0
	v_add_nc_u64_e32 v[4:5], 0x100, v[4:5]
	s_delay_alu instid0(VALU_DEP_2)
	v_cmp_le_i32_e32 vcc_lo, s12, v2
	s_or_b32 s0, vcc_lo, s0
	s_wait_loadcnt 0x0
	ds_store_b32 v1, v3
	v_add_nc_u32_e32 v1, 0x100, v1
	s_and_not1_b32 exec_lo, exec_lo, s0
	s_cbranch_execnz .LBB4_12
.LBB4_13:
	s_or_b32 exec_lo, exec_lo, s13
	v_mov_b32_e32 v1, 0
	s_wait_dscnt 0x0
	s_barrier_signal -1
	s_barrier_wait -1
	ds_load_b32 v1, v1
	s_cmp_lt_i32 s10, 2
	s_wait_dscnt 0x0
	v_readfirstlane_b32 s3, v1
	s_cbranch_scc1 .LBB4_21
; %bb.14:
	s_cmp_eq_u32 s10, 2
	s_cbranch_scc1 .LBB4_18
; %bb.15:
	v_dual_mov_b32 v3, s3 :: v_dual_mov_b32 v4, s3
	s_add_co_i32 s1, s10, -1
	s_add_co_i32 s7, 0, 8
	s_and_b32 s3, s1, -2
	s_mov_b32 s6, 2
.LBB4_16:                               ; =>This Inner Loop Header: Depth=1
	v_dual_mov_b32 v1, s7 :: v_dual_mov_b32 v2, v3
	s_cmp_lg_u32 s3, s6
	s_cselect_b32 s12, -1, 0
	ds_load_2addr_b32 v[6:7], v1 offset1:2
	v_dual_mov_b32 v1, v4 :: v_dual_max_num_f32 v5, v2, v2
	s_delay_alu instid0(VALU_DEP_1)
	v_max_num_f32_e32 v3, v1, v1
	s_wait_dscnt 0x0
	v_cmp_u_f32_e32 vcc_lo, v7, v7
	v_max_num_f32_e32 v7, v7, v7
	v_cndmask_b32_e64 v4, 0, 1, vcc_lo
	v_cmp_u_f32_e32 vcc_lo, v6, v6
	v_max_num_f32_e32 v6, v6, v6
	s_delay_alu instid0(VALU_DEP_3) | instskip(SKIP_1) | instid1(VALU_DEP_3)
	v_readfirstlane_b32 s0, v4
	v_cndmask_b32_e64 v8, 0, 1, vcc_lo
	v_dual_max_num_f32 v4, v3, v7 :: v_dual_max_num_f32 v3, v5, v6
	s_lshl_b32 s0, s0, 1
	s_delay_alu instid0(VALU_DEP_2) | instskip(SKIP_1) | instid1(SALU_CYCLE_1)
	v_readfirstlane_b32 s13, v8
	s_or_b32 s0, s13, s0
	s_and_b32 s13, s0, 3
	s_delay_alu instid0(SALU_CYCLE_1)
	s_cmp_lg_u32 s13, 0
	s_cselect_b32 s0, -1, 0
	s_cmp_eq_u32 s13, 0
	s_cselect_b32 s13, -1, 0
	s_add_co_i32 s6, s6, 2
	s_and_b32 s12, s13, s12
	s_add_co_i32 s7, s7, 16
	s_and_b32 vcc_lo, exec_lo, s12
	s_cbranch_vccnz .LBB4_16
; %bb.17:
	v_dual_cndmask_b32 v2, v3, v2, s0 :: v_dual_cndmask_b32 v1, v4, v1, s0
	s_add_co_i32 s6, s6, -4
	s_and_b32 s7, s0, exec_lo
	s_cselect_b32 s6, s6, s1
	s_delay_alu instid0(VALU_DEP_1) | instskip(SKIP_3) | instid1(VALU_DEP_1)
	v_dual_max_num_f32 v2, v2, v2 :: v_dual_max_num_f32 v1, v1, v1
	s_or_b32 s6, s6, 1
	s_cmp_lg_u32 s1, s3
	s_cselect_b32 s1, -1, 0
	v_readfirstlane_b32 s7, v2
	v_readfirstlane_b32 s12, v1
	s_or_b32 s0, s1, s0
	s_max_num_f32 s3, s7, s12
	s_and_b32 vcc_lo, exec_lo, s0
	s_cbranch_vccnz .LBB4_19
	s_branch .LBB4_21
.LBB4_18:
	s_mov_b32 s6, 1
	s_cbranch_execz .LBB4_21
.LBB4_19:
	s_lshl_b32 s1, s6, 3
	s_sub_co_i32 s0, s10, s6
	s_add_co_i32 s1, s1, 0
.LBB4_20:                               ; =>This Inner Loop Header: Depth=1
	s_delay_alu instid0(SALU_CYCLE_1) | instskip(NEXT) | instid1(SALU_CYCLE_1)
	v_mov_b32_e32 v1, s1
	v_max_num_f32_e64 v2, s3, s3
	s_add_co_i32 s0, s0, -1
	s_add_co_i32 s1, s1, 8
	s_cmp_eq_u32 s0, 0
	ds_load_b32 v1, v1
	v_readfirstlane_b32 s3, v2
	s_wait_dscnt 0x0
	v_max_num_f32_e32 v1, v1, v1
	s_delay_alu instid0(VALU_DEP_1)
	v_readfirstlane_b32 s6, v1
	s_max_num_f32 s3, s3, s6
	s_cbranch_scc0 .LBB4_20
.LBB4_21:
	s_cmp_lt_i32 s10, 1
	s_cbranch_scc1 .LBB4_26
; %bb.22:
	s_lshl_b32 s0, s2, 6
	s_delay_alu instid0(SALU_CYCLE_1) | instskip(NEXT) | instid1(SALU_CYCLE_1)
	s_ashr_i32 s1, s0, 31
	s_lshl_b64 s[0:1], s[0:1], 2
	s_cmp_lt_u32 s10, 8
	s_add_nc_u64 s[0:1], s[4:5], s[0:1]
	s_cbranch_scc1 .LBB4_27
; %bb.23:
	v_mov_b32_e32 v2, 0
	v_or_b32_e32 v1, 0x1c0, v0
	s_and_b32 s2, s10, 0x7ffffff8
	s_mov_b32 s4, 0
	s_mov_b32 s5, 0
	v_mov_b32_e32 v3, v2
.LBB4_24:                               ; =>This Inner Loop Header: Depth=1
	v_add_nc_u32_e32 v4, 0xfffffe40, v1
	v_dual_mov_b32 v16, s5 :: v_dual_add_nc_u32 v5, 0xfffffe80, v1
	s_clause 0x1
	global_load_b32 v21, v4, s[0:1] scale_offset
	global_load_b32 v23, v5, s[0:1] scale_offset
	s_wait_xcnt 0x1
	v_add_nc_u32_e32 v4, 0xfffffec0, v1
	s_wait_xcnt 0x0
	v_add_nc_u32_e32 v5, 0xffffff00, v1
	s_clause 0x1
	global_load_b32 v25, v4, s[0:1] scale_offset
	global_load_b32 v27, v5, s[0:1] scale_offset
	s_wait_xcnt 0x1
	v_add_nc_u32_e32 v4, 0xffffff40, v1
	s_wait_xcnt 0x0
	v_add_nc_u32_e32 v5, 0xffffff80, v1
	global_load_b32 v29, v4, s[0:1] scale_offset
	s_wait_xcnt 0x0
	v_subrev_nc_u32_e32 v4, 64, v1
	s_clause 0x2
	global_load_b32 v31, v5, s[0:1] scale_offset
	global_load_b32 v33, v4, s[0:1] scale_offset
	;; [unrolled: 1-line block ×3, first 2 shown]
	s_wait_xcnt 0x1
	ds_load_2addr_b64 v[4:7], v16 offset1:1
	ds_load_2addr_b64 v[8:11], v16 offset0:2 offset1:3
	ds_load_2addr_b64 v[12:15], v16 offset0:4 offset1:5
	;; [unrolled: 1-line block ×3, first 2 shown]
	s_wait_xcnt 0x0
	v_add_nc_u32_e32 v1, 0x200, v1
	s_wait_dscnt 0x3
	v_readfirstlane_b32 s6, v4
	v_readfirstlane_b32 s7, v6
	s_wait_dscnt 0x2
	v_readfirstlane_b32 s12, v8
	v_dual_mov_b32 v20, v5 :: v_dual_mov_b32 v26, v11
	s_sub_f32 s6, s6, s3
	s_sub_f32 s7, s7, s3
	s_sub_f32 s12, s12, s3
	v_readfirstlane_b32 s13, v10
	s_mul_f32 s18, s6, 0x3fb8aa3b
	s_mul_f32 s19, s7, 0x3fb8aa3b
	;; [unrolled: 1-line block ×3, first 2 shown]
	s_wait_dscnt 0x1
	v_readfirstlane_b32 s14, v12
	s_xor_b32 s26, s18, 0x80000000
	s_rndne_f32 s27, s18
	s_fmamk_f32 s26, s6, 0x3fb8aa3b, s26
	s_cmp_nlt_f32 s6, 0xc2ce8ed0
	s_rndne_f32 s28, s19
	s_sub_f32 s18, s18, s27
	s_fmamk_f32 s26, s6, 0x32a5705f, s26
	s_cvt_i32_f32 s27, s27
	s_cselect_b32 vcc_lo, -1, 0
	s_cmp_ngt_f32 s6, 0x42b17218
	s_add_f32 s18, s18, s26
	s_sub_f32 s36, s19, s28
	s_cvt_i32_f32 s28, s28
	s_rndne_f32 s29, s20
	v_s_exp_f32 s18, s18
	s_sub_f32 s13, s13, s3
	s_sub_f32 s14, s14, s3
	;; [unrolled: 1-line block ×3, first 2 shown]
	s_cvt_i32_f32 s29, s29
	s_mul_f32 s21, s13, 0x3fb8aa3b
	s_mul_f32 s22, s14, 0x3fb8aa3b
	v_readfirstlane_b32 s15, v14
	v_ldexp_f32 v4, s18, s27
	s_wait_dscnt 0x0
	v_mov_b32_e32 v32, v17
	s_rndne_f32 s30, s21
	s_rndne_f32 s31, s22
	s_sub_f32 s15, s15, s3
	v_cndmask_b32_e32 v4, 0, v4, vcc_lo
	s_cselect_b32 vcc_lo, -1, 0
	s_xor_b32 s6, s19, 0x80000000
	s_cmp_nlt_f32 s7, 0xc2ce8ed0
	s_fmamk_f32 s6, s7, 0x3fb8aa3b, s6
	v_cndmask_b32_e32 v4, 0x7f800000, v4, vcc_lo
	s_sub_f32 s38, s21, s30
	s_cselect_b32 vcc_lo, -1, 0
	s_fmamk_f32 s6, s7, 0x32a5705f, s6
	s_cmp_ngt_f32 s7, 0x42b17218
	s_cvt_i32_f32 s30, s30
	s_sub_f32 s39, s22, s31
	s_add_f32 s6, s36, s6
	s_cvt_i32_f32 s31, s31
	s_mul_f32 s23, s15, 0x3fb8aa3b
	v_readfirstlane_b32 s16, v16
	v_s_exp_f32 s6, s6
	v_readfirstlane_b32 s17, v18
	s_rndne_f32 s33, s23
	v_mov_b32_e32 v22, v7
	s_sub_f32 s16, s16, s3
	v_mov_b32_e32 v34, v19
	s_sub_f32 s40, s23, s33
	s_cvt_i32_f32 s33, s33
	v_ldexp_f32 v5, s6, s28
	s_mul_f32 s24, s16, 0x3fb8aa3b
	s_sub_f32 s17, s17, s3
	v_dual_mov_b32 v24, v9 :: v_dual_mov_b32 v28, v13
	s_delay_alu instid0(VALU_DEP_2)
	v_dual_mov_b32 v30, v15 :: v_dual_cndmask_b32 v5, 0, v5
	s_cselect_b32 vcc_lo, -1, 0
	s_xor_b32 s6, s20, 0x80000000
	s_cmp_nlt_f32 s12, 0xc2ce8ed0
	s_fmamk_f32 s6, s12, 0x3fb8aa3b, s6
	v_cndmask_b32_e32 v6, 0x7f800000, v5, vcc_lo
	s_rndne_f32 s34, s24
	s_cselect_b32 vcc_lo, -1, 0
	s_fmamk_f32 s6, s12, 0x32a5705f, s6
	s_cmp_ngt_f32 s12, 0x42b17218
	s_sub_f32 s41, s24, s34
	s_cvt_i32_f32 s34, s34
	s_add_f32 s6, s37, s6
	s_mul_f32 s25, s17, 0x3fb8aa3b
	s_delay_alu instid0(SALU_CYCLE_2) | instskip(NEXT) | instid1(SALU_CYCLE_2)
	v_s_exp_f32 s6, s6
	s_rndne_f32 s35, s25
	s_delay_alu instid0(SALU_CYCLE_3) | instskip(SKIP_2) | instid1(TRANS32_DEP_1)
	s_sub_f32 s42, s25, s35
	s_cvt_i32_f32 s35, s35
	v_nop
	v_ldexp_f32 v5, s6, s29
	s_delay_alu instid0(VALU_DEP_1)
	v_cndmask_b32_e32 v5, 0, v5, vcc_lo
	s_cselect_b32 vcc_lo, -1, 0
	s_xor_b32 s6, s21, 0x80000000
	s_cmp_nlt_f32 s13, 0xc2ce8ed0
	s_fmamk_f32 s6, s13, 0x3fb8aa3b, s6
	v_cndmask_b32_e32 v8, 0x7f800000, v5, vcc_lo
	s_cselect_b32 vcc_lo, -1, 0
	s_delay_alu instid0(SALU_CYCLE_1) | instskip(SKIP_1) | instid1(SALU_CYCLE_2)
	s_fmamk_f32 s6, s13, 0x32a5705f, s6
	s_cmp_ngt_f32 s13, 0x42b17218
	s_add_f32 s6, s38, s6
	s_delay_alu instid0(SALU_CYCLE_3) | instskip(SKIP_1) | instid1(TRANS32_DEP_1)
	v_s_exp_f32 s6, s6
	v_nop
	v_ldexp_f32 v5, s6, s30
	s_delay_alu instid0(VALU_DEP_1)
	v_cndmask_b32_e32 v5, 0, v5, vcc_lo
	s_cselect_b32 vcc_lo, -1, 0
	s_xor_b32 s6, s22, 0x80000000
	s_cmp_nlt_f32 s14, 0xc2ce8ed0
	s_fmamk_f32 s6, s14, 0x3fb8aa3b, s6
	v_cndmask_b32_e32 v10, 0x7f800000, v5, vcc_lo
	s_cselect_b32 vcc_lo, -1, 0
	s_delay_alu instid0(SALU_CYCLE_1) | instskip(SKIP_1) | instid1(SALU_CYCLE_2)
	s_fmamk_f32 s6, s14, 0x32a5705f, s6
	s_cmp_ngt_f32 s14, 0x42b17218
	s_add_f32 s6, s39, s6
	s_delay_alu instid0(SALU_CYCLE_3) | instskip(SKIP_1) | instid1(TRANS32_DEP_1)
	v_s_exp_f32 s6, s6
	;; [unrolled: 16-line block ×4, first 2 shown]
	v_nop
	v_ldexp_f32 v5, s6, s34
	s_delay_alu instid0(VALU_DEP_1) | instskip(SKIP_4) | instid1(SALU_CYCLE_3)
	v_cndmask_b32_e32 v5, 0, v5, vcc_lo
	s_cselect_b32 vcc_lo, -1, 0
	s_xor_b32 s6, s25, 0x80000000
	s_cmp_nlt_f32 s17, 0xc2ce8ed0
	s_fmamk_f32 s6, s17, 0x3fb8aa3b, s6
	s_fmamk_f32 s6, s17, 0x32a5705f, s6
	s_delay_alu instid0(SALU_CYCLE_3) | instskip(NEXT) | instid1(SALU_CYCLE_3)
	s_add_f32 s6, s42, s6
	v_s_exp_f32 s6, s6
	s_wait_loadcnt 0x7
	v_pk_fma_f32 v[2:3], v[4:5], v[20:21], v[2:3] op_sel_hi:[0,1,1]
	v_cndmask_b32_e32 v4, 0x7f800000, v5, vcc_lo
	s_delay_alu instid0(TRANS32_DEP_1)
	v_ldexp_f32 v5, s6, s35
	s_cselect_b32 vcc_lo, -1, 0
	s_cmp_ngt_f32 s17, 0x42b17218
	s_wait_loadcnt 0x6
	v_pk_fma_f32 v[2:3], v[6:7], v[22:23], v[2:3] op_sel_hi:[0,1,1]
	v_cndmask_b32_e32 v5, 0, v5, vcc_lo
	s_cselect_b32 vcc_lo, -1, 0
	s_add_co_i32 s4, s4, 8
	s_wait_loadcnt 0x5
	v_pk_fma_f32 v[2:3], v[8:9], v[24:25], v[2:3] op_sel_hi:[0,1,1]
	s_add_co_i32 s5, s5, 64
	v_cndmask_b32_e32 v6, 0x7f800000, v5, vcc_lo
	s_cmp_eq_u32 s2, s4
	s_wait_loadcnt 0x4
	v_pk_fma_f32 v[2:3], v[10:11], v[26:27], v[2:3] op_sel_hi:[0,1,1]
	s_wait_loadcnt 0x3
	s_delay_alu instid0(VALU_DEP_1) | instskip(SKIP_1) | instid1(VALU_DEP_1)
	v_pk_fma_f32 v[2:3], v[12:13], v[28:29], v[2:3] op_sel_hi:[0,1,1]
	s_wait_loadcnt 0x2
	v_pk_fma_f32 v[2:3], v[14:15], v[30:31], v[2:3] op_sel_hi:[0,1,1]
	s_wait_loadcnt 0x1
	s_delay_alu instid0(VALU_DEP_1) | instskip(SKIP_1) | instid1(VALU_DEP_1)
	v_pk_fma_f32 v[2:3], v[4:5], v[32:33], v[2:3] op_sel_hi:[0,1,1]
	s_wait_loadcnt 0x0
	v_pk_fma_f32 v[2:3], v[6:7], v[34:35], v[2:3] op_sel_hi:[0,1,1]
	s_cbranch_scc0 .LBB4_24
; %bb.25:
	s_and_b32 s4, s10, 7
	s_delay_alu instid0(SALU_CYCLE_1)
	s_cmp_eq_u32 s4, 0
	s_cbranch_scc0 .LBB4_28
	s_branch .LBB4_30
.LBB4_26:
	v_mov_b32_e32 v1, 0x7fc00000
	s_branch .LBB4_31
.LBB4_27:
	v_mov_b64_e32 v[2:3], 0
	s_mov_b32 s2, 0
	s_and_b32 s4, s10, 7
	s_delay_alu instid0(SALU_CYCLE_1)
	s_cmp_eq_u32 s4, 0
	s_cbranch_scc1 .LBB4_30
.LBB4_28:
	v_lshl_or_b32 v1, s2, 6, v0
	s_lshl_b32 s2, s2, 3
	s_delay_alu instid0(SALU_CYCLE_1)
	s_add_co_i32 s2, s2, 0
.LBB4_29:                               ; =>This Inner Loop Header: Depth=1
	global_load_b32 v5, v1, s[0:1] scale_offset
	s_wait_xcnt 0x0
	v_dual_mov_b32 v4, s2 :: v_dual_add_nc_u32 v1, 64, v1
	ds_load_b64 v[6:7], v4
	s_wait_dscnt 0x0
	v_readfirstlane_b32 s5, v6
	s_sub_f32 s5, s5, s3
	s_delay_alu instid0(SALU_CYCLE_3) | instskip(NEXT) | instid1(SALU_CYCLE_3)
	s_mul_f32 s6, s5, 0x3fb8aa3b
	s_xor_b32 s7, s6, 0x80000000
	s_rndne_f32 s10, s6
	s_fmamk_f32 s7, s5, 0x3fb8aa3b, s7
	s_cmp_nlt_f32 s5, 0xc2ce8ed0
	s_delay_alu instid0(SALU_CYCLE_1) | instskip(NEXT) | instid1(SALU_CYCLE_1)
	s_sub_f32 s6, s6, s10
	s_fmamk_f32 s7, s5, 0x32a5705f, s7
	s_cselect_b32 vcc_lo, -1, 0
	s_cmp_ngt_f32 s5, 0x42b17218
	s_delay_alu instid0(SALU_CYCLE_1) | instskip(SKIP_1) | instid1(SALU_CYCLE_2)
	s_add_f32 s6, s6, s7
	s_cvt_i32_f32 s7, s10
	v_s_exp_f32 s6, s6
	v_nop
	s_delay_alu instid0(TRANS32_DEP_1) | instid1(SALU_CYCLE_1)
	v_ldexp_f32 v4, s6, s7
	s_delay_alu instid0(VALU_DEP_1) | instskip(SKIP_3) | instid1(VALU_DEP_1)
	v_dual_cndmask_b32 v6, 0, v4, vcc_lo :: v_dual_mov_b32 v4, v7
	s_cselect_b32 vcc_lo, -1, 0
	s_add_co_i32 s4, s4, -1
	s_add_co_i32 s2, s2, 8
	v_cndmask_b32_e32 v6, 0x7f800000, v6, vcc_lo
	s_cmp_lg_u32 s4, 0
	s_wait_loadcnt 0x0
	s_delay_alu instid0(VALU_DEP_1)
	v_pk_fma_f32 v[2:3], v[6:7], v[4:5], v[2:3] op_sel_hi:[0,1,1]
	s_cbranch_scc1 .LBB4_29
.LBB4_30:
	s_delay_alu instid0(VALU_DEP_1) | instskip(NEXT) | instid1(VALU_DEP_1)
	v_div_scale_f32 v1, null, v2, v2, v3
	v_rcp_f32_e32 v4, v1
	v_nop
	s_delay_alu instid0(TRANS32_DEP_1) | instskip(NEXT) | instid1(VALU_DEP_1)
	v_fma_f32 v5, -v1, v4, 1.0
	v_fmac_f32_e32 v4, v5, v4
	v_div_scale_f32 v5, vcc_lo, v3, v2, v3
	s_delay_alu instid0(VALU_DEP_1) | instskip(NEXT) | instid1(VALU_DEP_1)
	v_mul_f32_e32 v6, v5, v4
	v_fma_f32 v7, -v1, v6, v5
	s_delay_alu instid0(VALU_DEP_1) | instskip(NEXT) | instid1(VALU_DEP_1)
	v_fmac_f32_e32 v6, v7, v4
	v_fma_f32 v1, -v1, v6, v5
	s_delay_alu instid0(VALU_DEP_1) | instskip(NEXT) | instid1(VALU_DEP_1)
	v_div_fmas_f32 v1, v1, v4, v6
	v_div_fixup_f32 v1, v1, v2, v3
.LBB4_31:
	s_lshl_b32 s0, s11, 6
	s_delay_alu instid0(SALU_CYCLE_1) | instskip(NEXT) | instid1(SALU_CYCLE_1)
	s_ashr_i32 s1, s0, 31
	s_lshl_b64 s[0:1], s[0:1], 2
	s_delay_alu instid0(SALU_CYCLE_1)
	s_add_nc_u64 s[0:1], s[8:9], s[0:1]
	global_store_b32 v0, v1, s[0:1] scale_offset
	s_endpgm
	.section	.rodata,"a",@progbits
	.p2align	6, 0x0
	.amdhsa_kernel _ZL26flash_attn_combine_resultsILi64EEvPKfPK15HIP_vector_typeIfLj2EEPfi
		.amdhsa_group_segment_fixed_size 0
		.amdhsa_private_segment_fixed_size 0
		.amdhsa_kernarg_size 288
		.amdhsa_user_sgpr_count 2
		.amdhsa_user_sgpr_dispatch_ptr 0
		.amdhsa_user_sgpr_queue_ptr 0
		.amdhsa_user_sgpr_kernarg_segment_ptr 1
		.amdhsa_user_sgpr_dispatch_id 0
		.amdhsa_user_sgpr_kernarg_preload_length 0
		.amdhsa_user_sgpr_kernarg_preload_offset 0
		.amdhsa_user_sgpr_private_segment_size 0
		.amdhsa_wavefront_size32 1
		.amdhsa_uses_dynamic_stack 0
		.amdhsa_enable_private_segment 0
		.amdhsa_system_sgpr_workgroup_id_x 1
		.amdhsa_system_sgpr_workgroup_id_y 1
		.amdhsa_system_sgpr_workgroup_id_z 1
		.amdhsa_system_sgpr_workgroup_info 0
		.amdhsa_system_vgpr_workitem_id 0
		.amdhsa_next_free_vgpr 36
		.amdhsa_next_free_sgpr 43
		.amdhsa_named_barrier_count 0
		.amdhsa_reserve_vcc 1
		.amdhsa_float_round_mode_32 0
		.amdhsa_float_round_mode_16_64 0
		.amdhsa_float_denorm_mode_32 3
		.amdhsa_float_denorm_mode_16_64 3
		.amdhsa_fp16_overflow 0
		.amdhsa_memory_ordered 1
		.amdhsa_forward_progress 1
		.amdhsa_inst_pref_size 28
		.amdhsa_round_robin_scheduling 0
		.amdhsa_exception_fp_ieee_invalid_op 0
		.amdhsa_exception_fp_denorm_src 0
		.amdhsa_exception_fp_ieee_div_zero 0
		.amdhsa_exception_fp_ieee_overflow 0
		.amdhsa_exception_fp_ieee_underflow 0
		.amdhsa_exception_fp_ieee_inexact 0
		.amdhsa_exception_int_div_zero 0
	.end_amdhsa_kernel
	.section	.text._ZL26flash_attn_combine_resultsILi64EEvPKfPK15HIP_vector_typeIfLj2EEPfi,"axG",@progbits,_ZL26flash_attn_combine_resultsILi64EEvPKfPK15HIP_vector_typeIfLj2EEPfi,comdat
.Lfunc_end4:
	.size	_ZL26flash_attn_combine_resultsILi64EEvPKfPK15HIP_vector_typeIfLj2EEPfi, .Lfunc_end4-_ZL26flash_attn_combine_resultsILi64EEvPKfPK15HIP_vector_typeIfLj2EEPfi
                                        ; -- End function
	.set _ZL26flash_attn_combine_resultsILi64EEvPKfPK15HIP_vector_typeIfLj2EEPfi.num_vgpr, 36
	.set _ZL26flash_attn_combine_resultsILi64EEvPKfPK15HIP_vector_typeIfLj2EEPfi.num_agpr, 0
	.set _ZL26flash_attn_combine_resultsILi64EEvPKfPK15HIP_vector_typeIfLj2EEPfi.numbered_sgpr, 43
	.set _ZL26flash_attn_combine_resultsILi64EEvPKfPK15HIP_vector_typeIfLj2EEPfi.num_named_barrier, 0
	.set _ZL26flash_attn_combine_resultsILi64EEvPKfPK15HIP_vector_typeIfLj2EEPfi.private_seg_size, 0
	.set _ZL26flash_attn_combine_resultsILi64EEvPKfPK15HIP_vector_typeIfLj2EEPfi.uses_vcc, 1
	.set _ZL26flash_attn_combine_resultsILi64EEvPKfPK15HIP_vector_typeIfLj2EEPfi.uses_flat_scratch, 0
	.set _ZL26flash_attn_combine_resultsILi64EEvPKfPK15HIP_vector_typeIfLj2EEPfi.has_dyn_sized_stack, 0
	.set _ZL26flash_attn_combine_resultsILi64EEvPKfPK15HIP_vector_typeIfLj2EEPfi.has_recursion, 0
	.set _ZL26flash_attn_combine_resultsILi64EEvPKfPK15HIP_vector_typeIfLj2EEPfi.has_indirect_call, 0
	.section	.AMDGPU.csdata,"",@progbits
; Kernel info:
; codeLenInByte = 3580
; TotalNumSgprs: 45
; NumVgprs: 36
; ScratchSize: 0
; MemoryBound: 0
; FloatMode: 240
; IeeeMode: 1
; LDSByteSize: 0 bytes/workgroup (compile time only)
; SGPRBlocks: 0
; VGPRBlocks: 2
; NumSGPRsForWavesPerEU: 45
; NumVGPRsForWavesPerEU: 36
; NamedBarCnt: 0
; Occupancy: 16
; WaveLimiterHint : 0
; COMPUTE_PGM_RSRC2:SCRATCH_EN: 0
; COMPUTE_PGM_RSRC2:USER_SGPR: 2
; COMPUTE_PGM_RSRC2:TRAP_HANDLER: 0
; COMPUTE_PGM_RSRC2:TGID_X_EN: 1
; COMPUTE_PGM_RSRC2:TGID_Y_EN: 1
; COMPUTE_PGM_RSRC2:TGID_Z_EN: 1
; COMPUTE_PGM_RSRC2:TIDIG_COMP_CNT: 0
	.text
	.p2align	2                               ; -- Begin function __ockl_printf_append_string_n
	.type	__ockl_printf_append_string_n,@function
__ockl_printf_append_string_n:          ; @__ockl_printf_append_string_n
; %bb.0:
	s_wait_loadcnt_dscnt 0x0
	s_wait_kmcnt 0x0
	v_mov_b32_e32 v2, v0
	v_mbcnt_lo_u32_b32 v30, -1, 0
	s_get_pc_i64 s[0:1]
	s_add_nc_u64 s[0:1], s[0:1], __FUNCTION__._ZL18flash_attn_ext_vecILi64ELi1EL9ggml_type1ELS0_1ELb1EEvPKcS2_S2_S2_S2_PKiPfP15HIP_vector_typeIfLj2EEffffjfiS6_IjLj3EEiiiiiiiiiiiliiliiiiil@rel64+4
	s_delay_alu instid0(SALU_CYCLE_1)
	s_cmp_lg_u64 s[0:1], 0
	s_cbranch_scc0 .LBB5_87
; %bb.1:
	s_load_b64 s[2:3], s[8:9], 0x50
	v_dual_mov_b32 v11, 0 :: v_dual_bitop2_b32 v0, -3, v2 bitop3:0x40
	v_mov_b64_e32 v[12:13], 0x100000002
	v_mov_b64_e32 v[34:35], s[0:1]
	v_and_b32_e32 v32, 2, v2
	s_delay_alu instid0(VALU_DEP_4)
	v_mov_b64_e32 v[6:7], v[0:1]
	s_mov_b32 s7, 0
	s_mov_b32 s6, 0
	s_branch .LBB5_3
.LBB5_2:                                ;   in Loop: Header=BB5_3 Depth=1
	s_or_b32 exec_lo, exec_lo, s10
	v_sub_nc_u64_e32 v[4:5], v[4:5], v[36:37]
	v_add_nc_u64_e32 v[34:35], v[34:35], v[36:37]
	s_delay_alu instid0(VALU_DEP_2) | instskip(SKIP_1) | instid1(SALU_CYCLE_1)
	v_cmp_eq_u64_e32 vcc_lo, 0, v[4:5]
	s_or_b32 s6, vcc_lo, s6
	s_and_not1_b32 exec_lo, exec_lo, s6
	s_cbranch_execz .LBB5_85
.LBB5_3:                                ; =>This Loop Header: Depth=1
                                        ;     Child Loop BB5_6 Depth 2
                                        ;     Child Loop BB5_14 Depth 2
	;; [unrolled: 1-line block ×11, first 2 shown]
	v_min_u64 v[36:37], v[4:5], 56
	s_delay_alu instid0(VALU_DEP_3)
	v_add_nc_u64_e32 v[16:17], 8, v[34:35]
	s_mov_b32 s0, exec_lo
	v_cmpx_gt_u64_e32 8, v[4:5]
	s_xor_b32 s4, exec_lo, s0
	s_cbranch_execz .LBB5_9
; %bb.4:                                ;   in Loop: Header=BB5_3 Depth=1
	v_mov_b64_e32 v[8:9], 0
	s_mov_b32 s5, exec_lo
	v_cmpx_ne_u64_e32 0, v[4:5]
	s_cbranch_execz .LBB5_8
; %bb.5:                                ;   in Loop: Header=BB5_3 Depth=1
	v_mov_b64_e32 v[8:9], 0
	v_mov_b64_e32 v[14:15], v[34:35]
	v_lshlrev_b32_e32 v0, 3, v36
	s_mov_b64 s[0:1], 0
	s_mov_b32 s10, 0
.LBB5_6:                                ;   Parent Loop BB5_3 Depth=1
                                        ; =>  This Inner Loop Header: Depth=2
	global_load_u8 v3, v[14:15], off
	v_mov_b32_e32 v17, s7
	s_wait_xcnt 0x0
	v_add_nc_u64_e32 v[14:15], 1, v[14:15]
	s_wait_loadcnt 0x0
	v_and_b32_e32 v16, 0xffff, v3
	s_delay_alu instid0(VALU_DEP_1) | instskip(SKIP_1) | instid1(SALU_CYCLE_1)
	v_lshlrev_b64_e32 v[16:17], s0, v[16:17]
	s_add_nc_u64 s[0:1], s[0:1], 8
	v_cmp_eq_u32_e32 vcc_lo, s0, v0
	s_delay_alu instid0(VALU_DEP_2) | instskip(NEXT) | instid1(VALU_DEP_3)
	v_or_b32_e32 v9, v17, v9
	v_or_b32_e32 v8, v16, v8
	s_or_b32 s10, vcc_lo, s10
	s_delay_alu instid0(SALU_CYCLE_1)
	s_and_not1_b32 exec_lo, exec_lo, s10
	s_cbranch_execnz .LBB5_6
; %bb.7:                                ;   in Loop: Header=BB5_3 Depth=1
	s_or_b32 exec_lo, exec_lo, s10
.LBB5_8:                                ;   in Loop: Header=BB5_3 Depth=1
	s_delay_alu instid0(SALU_CYCLE_1)
	s_or_b32 exec_lo, exec_lo, s5
	v_mov_b64_e32 v[16:17], v[34:35]
.LBB5_9:                                ;   in Loop: Header=BB5_3 Depth=1
	s_or_saveexec_b32 s0, s4
	v_mov_b32_e32 v0, 0
	s_xor_b32 exec_lo, exec_lo, s0
	s_cbranch_execz .LBB5_11
; %bb.10:                               ;   in Loop: Header=BB5_3 Depth=1
	global_load_b64 v[8:9], v[34:35], off
	v_add_nc_u32_e32 v0, -8, v36
.LBB5_11:                               ;   in Loop: Header=BB5_3 Depth=1
	s_wait_xcnt 0x0
	s_or_b32 exec_lo, exec_lo, s0
	v_add_nc_u64_e32 v[18:19], 8, v[16:17]
                                        ; implicit-def: $vgpr14_vgpr15
	s_mov_b32 s0, exec_lo
	v_cmpx_gt_u32_e32 8, v0
	s_xor_b32 s10, exec_lo, s0
	s_cbranch_execz .LBB5_17
; %bb.12:                               ;   in Loop: Header=BB5_3 Depth=1
	v_mov_b64_e32 v[14:15], 0
	s_mov_b32 s11, exec_lo
	v_cmpx_ne_u32_e32 0, v0
	s_cbranch_execz .LBB5_16
; %bb.13:                               ;   in Loop: Header=BB5_3 Depth=1
	v_mov_b64_e32 v[14:15], 0
	s_mov_b64 s[0:1], 0
	s_mov_b32 s12, 0
	s_mov_b64 s[4:5], 0
.LBB5_14:                               ;   Parent Loop BB5_3 Depth=1
                                        ; =>  This Inner Loop Header: Depth=2
	s_delay_alu instid0(SALU_CYCLE_1) | instskip(SKIP_1) | instid1(SALU_CYCLE_1)
	v_add_nc_u64_e32 v[18:19], s[4:5], v[16:17]
	s_add_nc_u64 s[4:5], s[4:5], 1
	v_cmp_eq_u32_e32 vcc_lo, s4, v0
	global_load_u8 v3, v[18:19], off
	s_wait_xcnt 0x0
	v_mov_b32_e32 v19, s7
	s_or_b32 s12, vcc_lo, s12
	s_wait_loadcnt 0x0
	v_and_b32_e32 v18, 0xffff, v3
	s_delay_alu instid0(VALU_DEP_1) | instskip(SKIP_1) | instid1(VALU_DEP_1)
	v_lshlrev_b64_e32 v[18:19], s0, v[18:19]
	s_add_nc_u64 s[0:1], s[0:1], 8
	v_or_b32_e32 v15, v19, v15
	s_delay_alu instid0(VALU_DEP_2)
	v_or_b32_e32 v14, v18, v14
	s_and_not1_b32 exec_lo, exec_lo, s12
	s_cbranch_execnz .LBB5_14
; %bb.15:                               ;   in Loop: Header=BB5_3 Depth=1
	s_or_b32 exec_lo, exec_lo, s12
.LBB5_16:                               ;   in Loop: Header=BB5_3 Depth=1
	s_delay_alu instid0(SALU_CYCLE_1)
	s_or_b32 exec_lo, exec_lo, s11
	v_mov_b64_e32 v[18:19], v[16:17]
                                        ; implicit-def: $vgpr0
.LBB5_17:                               ;   in Loop: Header=BB5_3 Depth=1
	s_or_saveexec_b32 s0, s10
	v_mov_b32_e32 v3, 0
	s_xor_b32 exec_lo, exec_lo, s0
	s_cbranch_execz .LBB5_19
; %bb.18:                               ;   in Loop: Header=BB5_3 Depth=1
	global_load_b64 v[14:15], v[16:17], off
	v_add_nc_u32_e32 v3, -8, v0
.LBB5_19:                               ;   in Loop: Header=BB5_3 Depth=1
	s_wait_xcnt 0x0
	s_or_b32 exec_lo, exec_lo, s0
	v_add_nc_u64_e32 v[20:21], 8, v[18:19]
	s_mov_b32 s0, exec_lo
	v_cmpx_gt_u32_e32 8, v3
	s_xor_b32 s10, exec_lo, s0
	s_cbranch_execz .LBB5_25
; %bb.20:                               ;   in Loop: Header=BB5_3 Depth=1
	v_mov_b64_e32 v[16:17], 0
	s_mov_b32 s11, exec_lo
	v_cmpx_ne_u32_e32 0, v3
	s_cbranch_execz .LBB5_24
; %bb.21:                               ;   in Loop: Header=BB5_3 Depth=1
	v_mov_b64_e32 v[16:17], 0
	s_mov_b64 s[0:1], 0
	s_mov_b32 s12, 0
	s_mov_b64 s[4:5], 0
.LBB5_22:                               ;   Parent Loop BB5_3 Depth=1
                                        ; =>  This Inner Loop Header: Depth=2
	s_delay_alu instid0(SALU_CYCLE_1) | instskip(SKIP_1) | instid1(SALU_CYCLE_1)
	v_add_nc_u64_e32 v[20:21], s[4:5], v[18:19]
	s_add_nc_u64 s[4:5], s[4:5], 1
	v_cmp_eq_u32_e32 vcc_lo, s4, v3
	global_load_u8 v0, v[20:21], off
	s_wait_xcnt 0x0
	v_mov_b32_e32 v21, s7
	s_or_b32 s12, vcc_lo, s12
	s_wait_loadcnt 0x0
	v_and_b32_e32 v20, 0xffff, v0
	s_delay_alu instid0(VALU_DEP_1) | instskip(SKIP_1) | instid1(VALU_DEP_1)
	v_lshlrev_b64_e32 v[20:21], s0, v[20:21]
	s_add_nc_u64 s[0:1], s[0:1], 8
	v_or_b32_e32 v17, v21, v17
	s_delay_alu instid0(VALU_DEP_2)
	v_or_b32_e32 v16, v20, v16
	s_and_not1_b32 exec_lo, exec_lo, s12
	s_cbranch_execnz .LBB5_22
; %bb.23:                               ;   in Loop: Header=BB5_3 Depth=1
	s_or_b32 exec_lo, exec_lo, s12
.LBB5_24:                               ;   in Loop: Header=BB5_3 Depth=1
	s_delay_alu instid0(SALU_CYCLE_1)
	s_or_b32 exec_lo, exec_lo, s11
	v_mov_b64_e32 v[20:21], v[18:19]
                                        ; implicit-def: $vgpr3
.LBB5_25:                               ;   in Loop: Header=BB5_3 Depth=1
	s_or_saveexec_b32 s0, s10
	v_mov_b32_e32 v0, 0
	s_xor_b32 exec_lo, exec_lo, s0
	s_cbranch_execz .LBB5_27
; %bb.26:                               ;   in Loop: Header=BB5_3 Depth=1
	global_load_b64 v[16:17], v[18:19], off
	v_add_nc_u32_e32 v0, -8, v3
.LBB5_27:                               ;   in Loop: Header=BB5_3 Depth=1
	s_wait_xcnt 0x0
	s_or_b32 exec_lo, exec_lo, s0
	v_add_nc_u64_e32 v[22:23], 8, v[20:21]
                                        ; implicit-def: $vgpr18_vgpr19
	s_mov_b32 s0, exec_lo
	v_cmpx_gt_u32_e32 8, v0
	s_xor_b32 s10, exec_lo, s0
	s_cbranch_execz .LBB5_33
; %bb.28:                               ;   in Loop: Header=BB5_3 Depth=1
	v_mov_b64_e32 v[18:19], 0
	s_mov_b32 s11, exec_lo
	v_cmpx_ne_u32_e32 0, v0
	s_cbranch_execz .LBB5_32
; %bb.29:                               ;   in Loop: Header=BB5_3 Depth=1
	v_mov_b64_e32 v[18:19], 0
	s_mov_b64 s[0:1], 0
	s_mov_b32 s12, 0
	s_mov_b64 s[4:5], 0
.LBB5_30:                               ;   Parent Loop BB5_3 Depth=1
                                        ; =>  This Inner Loop Header: Depth=2
	s_delay_alu instid0(SALU_CYCLE_1) | instskip(SKIP_1) | instid1(SALU_CYCLE_1)
	v_add_nc_u64_e32 v[22:23], s[4:5], v[20:21]
	s_add_nc_u64 s[4:5], s[4:5], 1
	v_cmp_eq_u32_e32 vcc_lo, s4, v0
	global_load_u8 v3, v[22:23], off
	s_wait_xcnt 0x0
	v_mov_b32_e32 v23, s7
	s_or_b32 s12, vcc_lo, s12
	s_wait_loadcnt 0x0
	v_and_b32_e32 v22, 0xffff, v3
	s_delay_alu instid0(VALU_DEP_1) | instskip(SKIP_1) | instid1(VALU_DEP_1)
	v_lshlrev_b64_e32 v[22:23], s0, v[22:23]
	s_add_nc_u64 s[0:1], s[0:1], 8
	v_or_b32_e32 v19, v23, v19
	s_delay_alu instid0(VALU_DEP_2)
	v_or_b32_e32 v18, v22, v18
	s_and_not1_b32 exec_lo, exec_lo, s12
	s_cbranch_execnz .LBB5_30
; %bb.31:                               ;   in Loop: Header=BB5_3 Depth=1
	s_or_b32 exec_lo, exec_lo, s12
.LBB5_32:                               ;   in Loop: Header=BB5_3 Depth=1
	s_delay_alu instid0(SALU_CYCLE_1)
	s_or_b32 exec_lo, exec_lo, s11
	v_mov_b64_e32 v[22:23], v[20:21]
                                        ; implicit-def: $vgpr0
.LBB5_33:                               ;   in Loop: Header=BB5_3 Depth=1
	s_or_saveexec_b32 s0, s10
	v_mov_b32_e32 v3, 0
	s_xor_b32 exec_lo, exec_lo, s0
	s_cbranch_execz .LBB5_35
; %bb.34:                               ;   in Loop: Header=BB5_3 Depth=1
	global_load_b64 v[18:19], v[20:21], off
	v_add_nc_u32_e32 v3, -8, v0
.LBB5_35:                               ;   in Loop: Header=BB5_3 Depth=1
	s_wait_xcnt 0x0
	s_or_b32 exec_lo, exec_lo, s0
	v_add_nc_u64_e32 v[24:25], 8, v[22:23]
	s_mov_b32 s0, exec_lo
	v_cmpx_gt_u32_e32 8, v3
	s_xor_b32 s10, exec_lo, s0
	s_cbranch_execz .LBB5_41
; %bb.36:                               ;   in Loop: Header=BB5_3 Depth=1
	v_mov_b64_e32 v[20:21], 0
	s_mov_b32 s11, exec_lo
	v_cmpx_ne_u32_e32 0, v3
	s_cbranch_execz .LBB5_40
; %bb.37:                               ;   in Loop: Header=BB5_3 Depth=1
	v_mov_b64_e32 v[20:21], 0
	s_mov_b64 s[0:1], 0
	s_mov_b32 s12, 0
	s_mov_b64 s[4:5], 0
.LBB5_38:                               ;   Parent Loop BB5_3 Depth=1
                                        ; =>  This Inner Loop Header: Depth=2
	s_delay_alu instid0(SALU_CYCLE_1) | instskip(SKIP_1) | instid1(SALU_CYCLE_1)
	v_add_nc_u64_e32 v[24:25], s[4:5], v[22:23]
	s_add_nc_u64 s[4:5], s[4:5], 1
	v_cmp_eq_u32_e32 vcc_lo, s4, v3
	global_load_u8 v0, v[24:25], off
	s_wait_xcnt 0x0
	v_mov_b32_e32 v25, s7
	s_or_b32 s12, vcc_lo, s12
	s_wait_loadcnt 0x0
	v_and_b32_e32 v24, 0xffff, v0
	s_delay_alu instid0(VALU_DEP_1) | instskip(SKIP_1) | instid1(VALU_DEP_1)
	v_lshlrev_b64_e32 v[24:25], s0, v[24:25]
	s_add_nc_u64 s[0:1], s[0:1], 8
	v_or_b32_e32 v21, v25, v21
	s_delay_alu instid0(VALU_DEP_2)
	v_or_b32_e32 v20, v24, v20
	s_and_not1_b32 exec_lo, exec_lo, s12
	s_cbranch_execnz .LBB5_38
; %bb.39:                               ;   in Loop: Header=BB5_3 Depth=1
	s_or_b32 exec_lo, exec_lo, s12
.LBB5_40:                               ;   in Loop: Header=BB5_3 Depth=1
	s_delay_alu instid0(SALU_CYCLE_1)
	s_or_b32 exec_lo, exec_lo, s11
	v_mov_b64_e32 v[24:25], v[22:23]
                                        ; implicit-def: $vgpr3
.LBB5_41:                               ;   in Loop: Header=BB5_3 Depth=1
	s_or_saveexec_b32 s0, s10
	v_mov_b32_e32 v0, 0
	s_xor_b32 exec_lo, exec_lo, s0
	s_cbranch_execz .LBB5_43
; %bb.42:                               ;   in Loop: Header=BB5_3 Depth=1
	global_load_b64 v[20:21], v[22:23], off
	v_add_nc_u32_e32 v0, -8, v3
.LBB5_43:                               ;   in Loop: Header=BB5_3 Depth=1
	s_wait_xcnt 0x0
	s_or_b32 exec_lo, exec_lo, s0
	v_add_nc_u64_e32 v[26:27], 8, v[24:25]
                                        ; implicit-def: $vgpr22_vgpr23
	s_mov_b32 s0, exec_lo
	v_cmpx_gt_u32_e32 8, v0
	s_xor_b32 s10, exec_lo, s0
	s_cbranch_execz .LBB5_49
; %bb.44:                               ;   in Loop: Header=BB5_3 Depth=1
	v_mov_b64_e32 v[22:23], 0
	s_mov_b32 s11, exec_lo
	v_cmpx_ne_u32_e32 0, v0
	s_cbranch_execz .LBB5_48
; %bb.45:                               ;   in Loop: Header=BB5_3 Depth=1
	v_mov_b64_e32 v[22:23], 0
	s_mov_b64 s[0:1], 0
	s_mov_b32 s12, 0
	s_mov_b64 s[4:5], 0
.LBB5_46:                               ;   Parent Loop BB5_3 Depth=1
                                        ; =>  This Inner Loop Header: Depth=2
	s_delay_alu instid0(SALU_CYCLE_1) | instskip(SKIP_1) | instid1(SALU_CYCLE_1)
	v_add_nc_u64_e32 v[26:27], s[4:5], v[24:25]
	s_add_nc_u64 s[4:5], s[4:5], 1
	v_cmp_eq_u32_e32 vcc_lo, s4, v0
	global_load_u8 v3, v[26:27], off
	s_wait_xcnt 0x0
	v_mov_b32_e32 v27, s7
	s_or_b32 s12, vcc_lo, s12
	s_wait_loadcnt 0x0
	v_and_b32_e32 v26, 0xffff, v3
	s_delay_alu instid0(VALU_DEP_1) | instskip(SKIP_1) | instid1(VALU_DEP_1)
	v_lshlrev_b64_e32 v[26:27], s0, v[26:27]
	s_add_nc_u64 s[0:1], s[0:1], 8
	v_or_b32_e32 v23, v27, v23
	s_delay_alu instid0(VALU_DEP_2)
	v_or_b32_e32 v22, v26, v22
	s_and_not1_b32 exec_lo, exec_lo, s12
	s_cbranch_execnz .LBB5_46
; %bb.47:                               ;   in Loop: Header=BB5_3 Depth=1
	s_or_b32 exec_lo, exec_lo, s12
.LBB5_48:                               ;   in Loop: Header=BB5_3 Depth=1
	s_delay_alu instid0(SALU_CYCLE_1)
	s_or_b32 exec_lo, exec_lo, s11
	v_mov_b64_e32 v[26:27], v[24:25]
                                        ; implicit-def: $vgpr0
.LBB5_49:                               ;   in Loop: Header=BB5_3 Depth=1
	s_or_saveexec_b32 s0, s10
	v_mov_b32_e32 v3, 0
	s_xor_b32 exec_lo, exec_lo, s0
	s_cbranch_execz .LBB5_51
; %bb.50:                               ;   in Loop: Header=BB5_3 Depth=1
	global_load_b64 v[22:23], v[24:25], off
	v_add_nc_u32_e32 v3, -8, v0
.LBB5_51:                               ;   in Loop: Header=BB5_3 Depth=1
	s_wait_xcnt 0x0
	s_or_b32 exec_lo, exec_lo, s0
	s_delay_alu instid0(SALU_CYCLE_1) | instskip(NEXT) | instid1(VALU_DEP_1)
	s_mov_b32 s0, exec_lo
	v_cmpx_gt_u32_e32 8, v3
	s_xor_b32 s4, exec_lo, s0
	s_cbranch_execz .LBB5_57
; %bb.52:                               ;   in Loop: Header=BB5_3 Depth=1
	v_mov_b64_e32 v[24:25], 0
	s_mov_b32 s5, exec_lo
	v_cmpx_ne_u32_e32 0, v3
	s_cbranch_execz .LBB5_56
; %bb.53:                               ;   in Loop: Header=BB5_3 Depth=1
	v_mov_b64_e32 v[24:25], 0
	s_mov_b64 s[0:1], 0
	s_mov_b32 s10, 0
.LBB5_54:                               ;   Parent Loop BB5_3 Depth=1
                                        ; =>  This Inner Loop Header: Depth=2
	global_load_u8 v0, v[26:27], off
	v_dual_mov_b32 v29, s7 :: v_dual_add_nc_u32 v3, -1, v3
	s_wait_xcnt 0x0
	v_add_nc_u64_e32 v[26:27], 1, v[26:27]
	s_delay_alu instid0(VALU_DEP_2) | instskip(SKIP_3) | instid1(VALU_DEP_1)
	v_cmp_eq_u32_e32 vcc_lo, 0, v3
	s_or_b32 s10, vcc_lo, s10
	s_wait_loadcnt 0x0
	v_and_b32_e32 v28, 0xffff, v0
	v_lshlrev_b64_e32 v[28:29], s0, v[28:29]
	s_add_nc_u64 s[0:1], s[0:1], 8
	s_delay_alu instid0(VALU_DEP_1) | instskip(NEXT) | instid1(VALU_DEP_2)
	v_or_b32_e32 v25, v29, v25
	v_or_b32_e32 v24, v28, v24
	s_and_not1_b32 exec_lo, exec_lo, s10
	s_cbranch_execnz .LBB5_54
; %bb.55:                               ;   in Loop: Header=BB5_3 Depth=1
	s_or_b32 exec_lo, exec_lo, s10
.LBB5_56:                               ;   in Loop: Header=BB5_3 Depth=1
	s_delay_alu instid0(SALU_CYCLE_1)
	s_or_b32 exec_lo, exec_lo, s5
                                        ; implicit-def: $vgpr26_vgpr27
.LBB5_57:                               ;   in Loop: Header=BB5_3 Depth=1
	s_and_not1_saveexec_b32 s0, s4
	s_cbranch_execz .LBB5_59
; %bb.58:                               ;   in Loop: Header=BB5_3 Depth=1
	global_load_b64 v[24:25], v[26:27], off
.LBB5_59:                               ;   in Loop: Header=BB5_3 Depth=1
	s_wait_xcnt 0x0
	s_or_b32 exec_lo, exec_lo, s0
	v_readfirstlane_b32 s0, v30
	v_mov_b64_e32 v[38:39], 0
	s_delay_alu instid0(VALU_DEP_2)
	v_cmp_eq_u32_e64 s0, s0, v30
	s_and_saveexec_b32 s1, s0
	s_cbranch_execz .LBB5_65
; %bb.60:                               ;   in Loop: Header=BB5_3 Depth=1
	s_wait_kmcnt 0x0
	global_load_b64 v[28:29], v11, s[2:3] offset:24 scope:SCOPE_SYS
	s_wait_loadcnt 0x0
	global_inv scope:SCOPE_SYS
	s_clause 0x1
	global_load_b64 v[26:27], v11, s[2:3] offset:40
	global_load_b64 v[38:39], v11, s[2:3]
	s_mov_b32 s4, exec_lo
	s_wait_loadcnt 0x1
	v_and_b32_e32 v26, v26, v28
	v_and_b32_e32 v27, v27, v29
	s_delay_alu instid0(VALU_DEP_1) | instskip(SKIP_1) | instid1(VALU_DEP_1)
	v_mul_u64_e32 v[26:27], 24, v[26:27]
	s_wait_loadcnt 0x0
	v_add_nc_u64_e32 v[26:27], v[38:39], v[26:27]
	global_load_b64 v[26:27], v[26:27], off scope:SCOPE_SYS
	s_wait_xcnt 0x0
	s_wait_loadcnt 0x0
	global_atomic_cmpswap_b64 v[38:39], v11, v[26:29], s[2:3] offset:24 th:TH_ATOMIC_RETURN scope:SCOPE_SYS
	s_wait_loadcnt 0x0
	global_inv scope:SCOPE_SYS
	s_wait_xcnt 0x0
	v_cmpx_ne_u64_e64 v[38:39], v[28:29]
	s_cbranch_execz .LBB5_64
; %bb.61:                               ;   in Loop: Header=BB5_3 Depth=1
	s_mov_b32 s5, 0
.LBB5_62:                               ;   Parent Loop BB5_3 Depth=1
                                        ; =>  This Inner Loop Header: Depth=2
	s_sleep 1
	s_clause 0x1
	global_load_b64 v[26:27], v11, s[2:3] offset:40
	global_load_b64 v[48:49], v11, s[2:3]
	v_mov_b64_e32 v[28:29], v[38:39]
	s_wait_loadcnt 0x1
	s_delay_alu instid0(VALU_DEP_1) | instskip(SKIP_1) | instid1(VALU_DEP_1)
	v_and_b32_e32 v0, v26, v28
	s_wait_loadcnt 0x0
	v_mad_nc_u64_u32 v[38:39], v0, 24, v[48:49]
	s_delay_alu instid0(VALU_DEP_3) | instskip(NEXT) | instid1(VALU_DEP_1)
	v_and_b32_e32 v0, v27, v29
	v_mad_u32 v39, v0, 24, v39
	global_load_b64 v[26:27], v[38:39], off scope:SCOPE_SYS
	s_wait_xcnt 0x0
	s_wait_loadcnt 0x0
	global_atomic_cmpswap_b64 v[38:39], v11, v[26:29], s[2:3] offset:24 th:TH_ATOMIC_RETURN scope:SCOPE_SYS
	s_wait_loadcnt 0x0
	global_inv scope:SCOPE_SYS
	v_cmp_eq_u64_e32 vcc_lo, v[38:39], v[28:29]
	s_or_b32 s5, vcc_lo, s5
	s_wait_xcnt 0x0
	s_and_not1_b32 exec_lo, exec_lo, s5
	s_cbranch_execnz .LBB5_62
; %bb.63:                               ;   in Loop: Header=BB5_3 Depth=1
	s_or_b32 exec_lo, exec_lo, s5
.LBB5_64:                               ;   in Loop: Header=BB5_3 Depth=1
	s_delay_alu instid0(SALU_CYCLE_1)
	s_or_b32 exec_lo, exec_lo, s4
.LBB5_65:                               ;   in Loop: Header=BB5_3 Depth=1
	s_delay_alu instid0(SALU_CYCLE_1)
	s_or_b32 exec_lo, exec_lo, s1
	s_wait_kmcnt 0x0
	s_clause 0x1
	global_load_b64 v[48:49], v11, s[2:3] offset:40
	global_load_b128 v[26:29], v11, s[2:3]
	v_readfirstlane_b32 s4, v38
	v_readfirstlane_b32 s5, v39
	s_mov_b32 s1, exec_lo
	s_wait_loadcnt 0x1
	v_and_b32_e32 v48, s4, v48
	v_and_b32_e32 v49, s5, v49
	s_delay_alu instid0(VALU_DEP_1) | instskip(SKIP_1) | instid1(VALU_DEP_1)
	v_mul_u64_e32 v[38:39], 24, v[48:49]
	s_wait_loadcnt 0x0
	v_add_nc_u64_e32 v[38:39], v[26:27], v[38:39]
	s_wait_xcnt 0x0
	s_and_saveexec_b32 s10, s0
	s_cbranch_execz .LBB5_67
; %bb.66:                               ;   in Loop: Header=BB5_3 Depth=1
	v_mov_b32_e32 v10, s1
	global_store_b128 v[38:39], v[10:13], off offset:8
.LBB5_67:                               ;   in Loop: Header=BB5_3 Depth=1
	s_wait_xcnt 0x0
	s_or_b32 exec_lo, exec_lo, s10
	v_cmp_gt_u64_e32 vcc_lo, 57, v[4:5]
	v_lshlrev_b64_e32 v[48:49], 12, v[48:49]
	v_and_b32_e32 v3, 0xffffff1f, v6
	v_lshl_add_u32 v6, v36, 2, 28
	v_dual_lshlrev_b32 v10, 6, v30 :: v_dual_cndmask_b32 v0, 0, v32, vcc_lo
	s_delay_alu instid0(VALU_DEP_4) | instskip(NEXT) | instid1(VALU_DEP_2)
	v_add_nc_u64_e32 v[28:29], v[28:29], v[48:49]
	v_or_b32_e32 v0, v3, v0
	s_delay_alu instid0(VALU_DEP_2) | instskip(NEXT) | instid1(VALU_DEP_3)
	v_readfirstlane_b32 s10, v28
	v_readfirstlane_b32 s11, v29
	s_delay_alu instid0(VALU_DEP_3)
	v_and_or_b32 v6, 0x1e0, v6, v0
	s_clause 0x3
	global_store_b128 v10, v[6:9], s[10:11]
	global_store_b128 v10, v[14:17], s[10:11] offset:16
	global_store_b128 v10, v[18:21], s[10:11] offset:32
	global_store_b128 v10, v[22:25], s[10:11] offset:48
	s_wait_xcnt 0x0
	s_and_saveexec_b32 s1, s0
	s_cbranch_execz .LBB5_75
; %bb.68:                               ;   in Loop: Header=BB5_3 Depth=1
	s_clause 0x1
	global_load_b64 v[18:19], v11, s[2:3] offset:32 scope:SCOPE_SYS
	global_load_b64 v[6:7], v11, s[2:3] offset:40
	s_mov_b32 s10, exec_lo
	v_dual_mov_b32 v16, s4 :: v_dual_mov_b32 v17, s5
	s_wait_loadcnt 0x0
	v_and_b32_e32 v7, s5, v7
	v_and_b32_e32 v6, s4, v6
	s_delay_alu instid0(VALU_DEP_1) | instskip(NEXT) | instid1(VALU_DEP_1)
	v_mul_u64_e32 v[6:7], 24, v[6:7]
	v_add_nc_u64_e32 v[14:15], v[26:27], v[6:7]
	global_store_b64 v[14:15], v[18:19], off
	global_wb scope:SCOPE_SYS
	s_wait_storecnt 0x0
	s_wait_xcnt 0x0
	global_atomic_cmpswap_b64 v[8:9], v11, v[16:19], s[2:3] offset:32 th:TH_ATOMIC_RETURN scope:SCOPE_SYS
	s_wait_loadcnt 0x0
	v_cmpx_ne_u64_e64 v[8:9], v[18:19]
	s_cbranch_execz .LBB5_71
; %bb.69:                               ;   in Loop: Header=BB5_3 Depth=1
	s_mov_b32 s11, 0
.LBB5_70:                               ;   Parent Loop BB5_3 Depth=1
                                        ; =>  This Inner Loop Header: Depth=2
	v_dual_mov_b32 v6, s4 :: v_dual_mov_b32 v7, s5
	s_sleep 1
	global_store_b64 v[14:15], v[8:9], off
	global_wb scope:SCOPE_SYS
	s_wait_storecnt 0x0
	s_wait_xcnt 0x0
	global_atomic_cmpswap_b64 v[6:7], v11, v[6:9], s[2:3] offset:32 th:TH_ATOMIC_RETURN scope:SCOPE_SYS
	s_wait_loadcnt 0x0
	v_cmp_eq_u64_e32 vcc_lo, v[6:7], v[8:9]
	v_mov_b64_e32 v[8:9], v[6:7]
	s_or_b32 s11, vcc_lo, s11
	s_delay_alu instid0(SALU_CYCLE_1)
	s_and_not1_b32 exec_lo, exec_lo, s11
	s_cbranch_execnz .LBB5_70
.LBB5_71:                               ;   in Loop: Header=BB5_3 Depth=1
	s_or_b32 exec_lo, exec_lo, s10
	global_load_b64 v[6:7], v11, s[2:3] offset:16
	s_mov_b32 s11, exec_lo
	s_mov_b32 s10, exec_lo
	v_mbcnt_lo_u32_b32 v0, s11, 0
	s_wait_xcnt 0x0
	s_delay_alu instid0(VALU_DEP_1)
	v_cmpx_eq_u32_e32 0, v0
	s_cbranch_execz .LBB5_73
; %bb.72:                               ;   in Loop: Header=BB5_3 Depth=1
	s_bcnt1_i32_b32 s11, s11
	s_delay_alu instid0(SALU_CYCLE_1)
	v_dual_mov_b32 v9, v11 :: v_dual_mov_b32 v8, s11
	global_wb scope:SCOPE_SYS
	s_wait_loadcnt 0x0
	s_wait_storecnt 0x0
	global_atomic_add_u64 v[6:7], v[8:9], off offset:8 scope:SCOPE_SYS
.LBB5_73:                               ;   in Loop: Header=BB5_3 Depth=1
	s_wait_xcnt 0x0
	s_or_b32 exec_lo, exec_lo, s10
	s_wait_loadcnt 0x0
	global_load_b64 v[8:9], v[6:7], off offset:16
	s_wait_loadcnt 0x0
	v_cmp_eq_u64_e32 vcc_lo, 0, v[8:9]
	s_cbranch_vccnz .LBB5_75
; %bb.74:                               ;   in Loop: Header=BB5_3 Depth=1
	global_load_b32 v6, v[6:7], off offset:24
	s_wait_xcnt 0x0
	v_mov_b32_e32 v7, v11
	s_wait_loadcnt 0x0
	v_readfirstlane_b32 s10, v6
	global_wb scope:SCOPE_SYS
	s_wait_storecnt 0x0
	global_store_b64 v[8:9], v[6:7], off scope:SCOPE_SYS
	s_and_b32 m0, s10, 0xffffff
	s_sendmsg sendmsg(MSG_INTERRUPT)
.LBB5_75:                               ;   in Loop: Header=BB5_3 Depth=1
	s_wait_xcnt 0x0
	s_or_b32 exec_lo, exec_lo, s1
	v_add_nc_u64_e32 v[6:7], v[28:29], v[10:11]
	s_branch .LBB5_79
.LBB5_76:                               ;   in Loop: Header=BB5_79 Depth=2
	s_wait_xcnt 0x0
	s_or_b32 exec_lo, exec_lo, s1
	s_delay_alu instid0(VALU_DEP_1)
	v_readfirstlane_b32 s1, v0
	s_cmp_eq_u32 s1, 0
	s_cbranch_scc1 .LBB5_78
; %bb.77:                               ;   in Loop: Header=BB5_79 Depth=2
	s_sleep 1
	s_cbranch_execnz .LBB5_79
	s_branch .LBB5_81
.LBB5_78:                               ;   in Loop: Header=BB5_3 Depth=1
	s_branch .LBB5_81
.LBB5_79:                               ;   Parent Loop BB5_3 Depth=1
                                        ; =>  This Inner Loop Header: Depth=2
	v_mov_b32_e32 v0, 1
	s_and_saveexec_b32 s1, s0
	s_cbranch_execz .LBB5_76
; %bb.80:                               ;   in Loop: Header=BB5_79 Depth=2
	global_load_b32 v0, v[38:39], off offset:20 scope:SCOPE_SYS
	s_wait_loadcnt 0x0
	global_inv scope:SCOPE_SYS
	v_and_b32_e32 v0, 1, v0
	s_branch .LBB5_76
.LBB5_81:                               ;   in Loop: Header=BB5_3 Depth=1
	global_load_b64 v[6:7], v[6:7], off
	s_wait_xcnt 0x0
	s_and_saveexec_b32 s10, s0
	s_cbranch_execz .LBB5_2
; %bb.82:                               ;   in Loop: Header=BB5_3 Depth=1
	s_clause 0x2
	global_load_b64 v[8:9], v11, s[2:3] offset:40
	global_load_b64 v[18:19], v11, s[2:3] offset:24 scope:SCOPE_SYS
	global_load_b64 v[14:15], v11, s[2:3]
	s_wait_loadcnt 0x2
	v_readfirstlane_b32 s12, v8
	v_readfirstlane_b32 s13, v9
	s_add_nc_u64 s[0:1], s[12:13], 1
	s_delay_alu instid0(SALU_CYCLE_1) | instskip(NEXT) | instid1(SALU_CYCLE_1)
	s_add_nc_u64 s[4:5], s[0:1], s[4:5]
	s_cmp_eq_u64 s[4:5], 0
	s_cselect_b32 s1, s1, s5
	s_cselect_b32 s0, s0, s4
	s_delay_alu instid0(SALU_CYCLE_1) | instskip(SKIP_1) | instid1(SALU_CYCLE_1)
	v_dual_mov_b32 v17, s1 :: v_dual_mov_b32 v16, s0
	s_and_b64 s[4:5], s[0:1], s[12:13]
	s_mul_u64 s[4:5], s[4:5], 24
	s_wait_loadcnt 0x0
	v_add_nc_u64_e32 v[8:9], s[4:5], v[14:15]
	global_store_b64 v[8:9], v[18:19], off
	global_wb scope:SCOPE_SYS
	s_wait_storecnt 0x0
	s_wait_xcnt 0x0
	global_atomic_cmpswap_b64 v[16:17], v11, v[16:19], s[2:3] offset:24 th:TH_ATOMIC_RETURN scope:SCOPE_SYS
	s_wait_loadcnt 0x0
	v_cmp_ne_u64_e32 vcc_lo, v[16:17], v[18:19]
	s_and_b32 exec_lo, exec_lo, vcc_lo
	s_cbranch_execz .LBB5_2
; %bb.83:                               ;   in Loop: Header=BB5_3 Depth=1
	s_mov_b32 s4, 0
.LBB5_84:                               ;   Parent Loop BB5_3 Depth=1
                                        ; =>  This Inner Loop Header: Depth=2
	v_dual_mov_b32 v14, s0 :: v_dual_mov_b32 v15, s1
	s_sleep 1
	global_store_b64 v[8:9], v[16:17], off
	global_wb scope:SCOPE_SYS
	s_wait_storecnt 0x0
	s_wait_xcnt 0x0
	global_atomic_cmpswap_b64 v[14:15], v11, v[14:17], s[2:3] offset:24 th:TH_ATOMIC_RETURN scope:SCOPE_SYS
	s_wait_loadcnt 0x0
	v_cmp_eq_u64_e32 vcc_lo, v[14:15], v[16:17]
	v_mov_b64_e32 v[16:17], v[14:15]
	s_or_b32 s4, vcc_lo, s4
	s_delay_alu instid0(SALU_CYCLE_1)
	s_and_not1_b32 exec_lo, exec_lo, s4
	s_cbranch_execnz .LBB5_84
	s_branch .LBB5_2
.LBB5_85:
	s_or_b32 exec_lo, exec_lo, s6
.LBB5_86:
	s_wait_loadcnt 0x0
	v_dual_mov_b32 v0, v6 :: v_dual_mov_b32 v1, v7
	s_wait_kmcnt 0x0
	s_set_pc_i64 s[30:31]
.LBB5_87:
                                        ; implicit-def: $vgpr6_vgpr7
	s_cbranch_execz .LBB5_86
; %bb.88:
	s_load_b64 s[2:3], s[8:9], 0x50
	v_readfirstlane_b32 s0, v30
	s_wait_loadcnt 0x0
	v_mov_b64_e32 v[6:7], 0
	s_delay_alu instid0(VALU_DEP_2)
	v_cmp_eq_u32_e64 s0, s0, v30
	s_and_saveexec_b32 s1, s0
	s_cbranch_execz .LBB5_94
; %bb.89:
	v_mov_b32_e32 v0, 0
	s_mov_b32 s4, exec_lo
	s_wait_kmcnt 0x0
	global_load_b64 v[8:9], v0, s[2:3] offset:24 scope:SCOPE_SYS
	s_wait_loadcnt 0x0
	global_inv scope:SCOPE_SYS
	s_clause 0x1
	global_load_b64 v[4:5], v0, s[2:3] offset:40
	global_load_b64 v[6:7], v0, s[2:3]
	s_wait_loadcnt 0x1
	v_and_b32_e32 v4, v4, v8
	v_and_b32_e32 v5, v5, v9
	s_delay_alu instid0(VALU_DEP_1) | instskip(SKIP_1) | instid1(VALU_DEP_1)
	v_mul_u64_e32 v[4:5], 24, v[4:5]
	s_wait_loadcnt 0x0
	v_add_nc_u64_e32 v[4:5], v[6:7], v[4:5]
	global_load_b64 v[6:7], v[4:5], off scope:SCOPE_SYS
	s_wait_xcnt 0x0
	s_wait_loadcnt 0x0
	global_atomic_cmpswap_b64 v[6:7], v0, v[6:9], s[2:3] offset:24 th:TH_ATOMIC_RETURN scope:SCOPE_SYS
	s_wait_loadcnt 0x0
	global_inv scope:SCOPE_SYS
	s_wait_xcnt 0x0
	v_cmpx_ne_u64_e64 v[6:7], v[8:9]
	s_cbranch_execz .LBB5_93
; %bb.90:
	s_mov_b32 s5, 0
.LBB5_91:                               ; =>This Inner Loop Header: Depth=1
	s_sleep 1
	s_clause 0x1
	global_load_b64 v[4:5], v0, s[2:3] offset:40
	global_load_b64 v[10:11], v0, s[2:3]
	v_mov_b64_e32 v[8:9], v[6:7]
	s_wait_loadcnt 0x1
	s_delay_alu instid0(VALU_DEP_1) | instskip(SKIP_1) | instid1(VALU_DEP_1)
	v_and_b32_e32 v3, v4, v8
	s_wait_loadcnt 0x0
	v_mad_nc_u64_u32 v[6:7], v3, 24, v[10:11]
	s_delay_alu instid0(VALU_DEP_3) | instskip(NEXT) | instid1(VALU_DEP_1)
	v_and_b32_e32 v3, v5, v9
	v_mad_u32 v7, v3, 24, v7
	global_load_b64 v[6:7], v[6:7], off scope:SCOPE_SYS
	s_wait_xcnt 0x0
	s_wait_loadcnt 0x0
	global_atomic_cmpswap_b64 v[6:7], v0, v[6:9], s[2:3] offset:24 th:TH_ATOMIC_RETURN scope:SCOPE_SYS
	s_wait_loadcnt 0x0
	global_inv scope:SCOPE_SYS
	v_cmp_eq_u64_e32 vcc_lo, v[6:7], v[8:9]
	s_or_b32 s5, vcc_lo, s5
	s_wait_xcnt 0x0
	s_and_not1_b32 exec_lo, exec_lo, s5
	s_cbranch_execnz .LBB5_91
; %bb.92:
	s_or_b32 exec_lo, exec_lo, s5
.LBB5_93:
	s_delay_alu instid0(SALU_CYCLE_1)
	s_or_b32 exec_lo, exec_lo, s4
.LBB5_94:
	s_delay_alu instid0(SALU_CYCLE_1)
	s_or_b32 exec_lo, exec_lo, s1
	v_readfirstlane_b32 s4, v6
	v_mov_b32_e32 v5, 0
	v_readfirstlane_b32 s5, v7
	s_mov_b32 s1, exec_lo
	s_wait_kmcnt 0x0
	s_clause 0x1
	global_load_b64 v[12:13], v5, s[2:3] offset:40
	global_load_b128 v[8:11], v5, s[2:3]
	s_wait_loadcnt 0x1
	v_and_b32_e32 v14, s4, v12
	v_and_b32_e32 v15, s5, v13
	s_delay_alu instid0(VALU_DEP_1) | instskip(SKIP_1) | instid1(VALU_DEP_1)
	v_mul_u64_e32 v[6:7], 24, v[14:15]
	s_wait_loadcnt 0x0
	v_add_nc_u64_e32 v[12:13], v[8:9], v[6:7]
	s_wait_xcnt 0x0
	s_and_saveexec_b32 s6, s0
	s_cbranch_execz .LBB5_96
; %bb.95:
	v_mov_b64_e32 v[6:7], 0x100000002
	v_mov_b32_e32 v4, s1
	global_store_b128 v[12:13], v[4:7], off offset:8
.LBB5_96:
	s_wait_xcnt 0x0
	s_or_b32 exec_lo, exec_lo, s6
	v_lshlrev_b64_e32 v[6:7], 12, v[14:15]
	s_mov_b32 s8, 0
	v_and_or_b32 v0, 0xffffff1f, v2, 32
	s_mov_b32 s10, s8
	s_mov_b32 s11, s8
	;; [unrolled: 1-line block ×3, first 2 shown]
	v_mov_b64_e32 v[16:17], s[10:11]
	v_add_nc_u64_e32 v[6:7], v[10:11], v[6:7]
	v_mov_b64_e32 v[14:15], s[8:9]
	v_dual_lshlrev_b32 v4, 6, v30 :: v_dual_mov_b32 v2, v5
	v_mov_b32_e32 v3, v5
	s_delay_alu instid0(VALU_DEP_4)
	v_readfirstlane_b32 s6, v6
	v_readfirstlane_b32 s7, v7
	s_clause 0x3
	global_store_b128 v4, v[0:3], s[6:7]
	global_store_b128 v4, v[14:17], s[6:7] offset:16
	global_store_b128 v4, v[14:17], s[6:7] offset:32
	;; [unrolled: 1-line block ×3, first 2 shown]
	s_wait_xcnt 0x0
	s_and_saveexec_b32 s1, s0
	s_cbranch_execz .LBB5_104
; %bb.97:
	v_dual_mov_b32 v10, 0 :: v_dual_mov_b32 v15, s5
	s_mov_b32 s6, exec_lo
	s_clause 0x1
	global_load_b64 v[16:17], v10, s[2:3] offset:32 scope:SCOPE_SYS
	global_load_b64 v[0:1], v10, s[2:3] offset:40
	s_wait_loadcnt 0x0
	v_dual_mov_b32 v14, s4 :: v_dual_bitop2_b32 v1, s5, v1 bitop3:0x40
	v_and_b32_e32 v0, s4, v0
	s_delay_alu instid0(VALU_DEP_1) | instskip(NEXT) | instid1(VALU_DEP_1)
	v_mul_u64_e32 v[0:1], 24, v[0:1]
	v_add_nc_u64_e32 v[8:9], v[8:9], v[0:1]
	global_store_b64 v[8:9], v[16:17], off
	global_wb scope:SCOPE_SYS
	s_wait_storecnt 0x0
	s_wait_xcnt 0x0
	global_atomic_cmpswap_b64 v[2:3], v10, v[14:17], s[2:3] offset:32 th:TH_ATOMIC_RETURN scope:SCOPE_SYS
	s_wait_loadcnt 0x0
	v_cmpx_ne_u64_e64 v[2:3], v[16:17]
	s_cbranch_execz .LBB5_100
; %bb.98:
	s_mov_b32 s7, 0
.LBB5_99:                               ; =>This Inner Loop Header: Depth=1
	v_dual_mov_b32 v0, s4 :: v_dual_mov_b32 v1, s5
	s_sleep 1
	global_store_b64 v[8:9], v[2:3], off
	global_wb scope:SCOPE_SYS
	s_wait_storecnt 0x0
	s_wait_xcnt 0x0
	global_atomic_cmpswap_b64 v[0:1], v10, v[0:3], s[2:3] offset:32 th:TH_ATOMIC_RETURN scope:SCOPE_SYS
	s_wait_loadcnt 0x0
	v_cmp_eq_u64_e32 vcc_lo, v[0:1], v[2:3]
	v_mov_b64_e32 v[2:3], v[0:1]
	s_or_b32 s7, vcc_lo, s7
	s_delay_alu instid0(SALU_CYCLE_1)
	s_and_not1_b32 exec_lo, exec_lo, s7
	s_cbranch_execnz .LBB5_99
.LBB5_100:
	s_or_b32 exec_lo, exec_lo, s6
	v_mov_b32_e32 v3, 0
	s_mov_b32 s7, exec_lo
	s_mov_b32 s6, exec_lo
	v_mbcnt_lo_u32_b32 v2, s7, 0
	global_load_b64 v[0:1], v3, s[2:3] offset:16
	s_wait_xcnt 0x0
	v_cmpx_eq_u32_e32 0, v2
	s_cbranch_execz .LBB5_102
; %bb.101:
	s_bcnt1_i32_b32 s7, s7
	s_delay_alu instid0(SALU_CYCLE_1)
	v_mov_b32_e32 v2, s7
	global_wb scope:SCOPE_SYS
	s_wait_loadcnt 0x0
	s_wait_storecnt 0x0
	global_atomic_add_u64 v[0:1], v[2:3], off offset:8 scope:SCOPE_SYS
.LBB5_102:
	s_wait_xcnt 0x0
	s_or_b32 exec_lo, exec_lo, s6
	s_wait_loadcnt 0x0
	global_load_b64 v[2:3], v[0:1], off offset:16
	s_wait_loadcnt 0x0
	v_cmp_eq_u64_e32 vcc_lo, 0, v[2:3]
	s_cbranch_vccnz .LBB5_104
; %bb.103:
	global_load_b32 v0, v[0:1], off offset:24
	s_wait_xcnt 0x0
	v_mov_b32_e32 v1, 0
	s_wait_loadcnt 0x0
	v_readfirstlane_b32 s6, v0
	global_wb scope:SCOPE_SYS
	s_wait_storecnt 0x0
	global_store_b64 v[2:3], v[0:1], off scope:SCOPE_SYS
	s_and_b32 m0, s6, 0xffffff
	s_sendmsg sendmsg(MSG_INTERRUPT)
.LBB5_104:
	s_wait_xcnt 0x0
	s_or_b32 exec_lo, exec_lo, s1
	v_add_nc_u64_e32 v[0:1], v[6:7], v[4:5]
	s_branch .LBB5_108
.LBB5_105:                              ;   in Loop: Header=BB5_108 Depth=1
	s_wait_xcnt 0x0
	s_or_b32 exec_lo, exec_lo, s1
	s_delay_alu instid0(VALU_DEP_1)
	v_readfirstlane_b32 s1, v2
	s_cmp_eq_u32 s1, 0
	s_cbranch_scc1 .LBB5_107
; %bb.106:                              ;   in Loop: Header=BB5_108 Depth=1
	s_sleep 1
	s_cbranch_execnz .LBB5_108
	s_branch .LBB5_110
.LBB5_107:
	s_branch .LBB5_110
.LBB5_108:                              ; =>This Inner Loop Header: Depth=1
	v_mov_b32_e32 v2, 1
	s_and_saveexec_b32 s1, s0
	s_cbranch_execz .LBB5_105
; %bb.109:                              ;   in Loop: Header=BB5_108 Depth=1
	global_load_b32 v2, v[12:13], off offset:20 scope:SCOPE_SYS
	s_wait_loadcnt 0x0
	global_inv scope:SCOPE_SYS
	v_and_b32_e32 v2, 1, v2
	s_branch .LBB5_105
.LBB5_110:
	global_load_b64 v[6:7], v[0:1], off
	s_wait_xcnt 0x0
	s_and_saveexec_b32 s6, s0
	s_cbranch_execz .LBB5_114
; %bb.111:
	v_mov_b32_e32 v8, 0
	s_clause 0x2
	global_load_b64 v[0:1], v8, s[2:3] offset:40
	global_load_b64 v[12:13], v8, s[2:3] offset:24 scope:SCOPE_SYS
	global_load_b64 v[2:3], v8, s[2:3]
	s_wait_loadcnt 0x2
	v_readfirstlane_b32 s8, v0
	v_readfirstlane_b32 s9, v1
	s_add_nc_u64 s[0:1], s[8:9], 1
	s_delay_alu instid0(SALU_CYCLE_1) | instskip(NEXT) | instid1(SALU_CYCLE_1)
	s_add_nc_u64 s[4:5], s[0:1], s[4:5]
	s_cmp_eq_u64 s[4:5], 0
	s_cselect_b32 s1, s1, s5
	s_cselect_b32 s0, s0, s4
	v_mov_b32_e32 v11, s1
	s_and_b64 s[4:5], s[0:1], s[8:9]
	v_mov_b32_e32 v10, s0
	s_mul_u64 s[4:5], s[4:5], 24
	s_wait_loadcnt 0x0
	v_add_nc_u64_e32 v[4:5], s[4:5], v[2:3]
	global_store_b64 v[4:5], v[12:13], off
	global_wb scope:SCOPE_SYS
	s_wait_storecnt 0x0
	s_wait_xcnt 0x0
	global_atomic_cmpswap_b64 v[2:3], v8, v[10:13], s[2:3] offset:24 th:TH_ATOMIC_RETURN scope:SCOPE_SYS
	s_wait_loadcnt 0x0
	v_cmp_ne_u64_e32 vcc_lo, v[2:3], v[12:13]
	s_and_b32 exec_lo, exec_lo, vcc_lo
	s_cbranch_execz .LBB5_114
; %bb.112:
	s_mov_b32 s4, 0
.LBB5_113:                              ; =>This Inner Loop Header: Depth=1
	v_dual_mov_b32 v0, s0 :: v_dual_mov_b32 v1, s1
	s_sleep 1
	global_store_b64 v[4:5], v[2:3], off
	global_wb scope:SCOPE_SYS
	s_wait_storecnt 0x0
	s_wait_xcnt 0x0
	global_atomic_cmpswap_b64 v[0:1], v8, v[0:3], s[2:3] offset:24 th:TH_ATOMIC_RETURN scope:SCOPE_SYS
	s_wait_loadcnt 0x0
	v_cmp_eq_u64_e32 vcc_lo, v[0:1], v[2:3]
	v_mov_b64_e32 v[2:3], v[0:1]
	s_or_b32 s4, vcc_lo, s4
	s_delay_alu instid0(SALU_CYCLE_1)
	s_and_not1_b32 exec_lo, exec_lo, s4
	s_cbranch_execnz .LBB5_113
.LBB5_114:
	s_or_b32 exec_lo, exec_lo, s6
	s_wait_loadcnt 0x0
	v_dual_mov_b32 v0, v6 :: v_dual_mov_b32 v1, v7
	s_wait_kmcnt 0x0
	s_set_pc_i64 s[30:31]
.Lfunc_end5:
	.size	__ockl_printf_append_string_n, .Lfunc_end5-__ockl_printf_append_string_n
                                        ; -- End function
	.set .L__ockl_printf_append_string_n.num_vgpr, 50
	.set .L__ockl_printf_append_string_n.num_agpr, 0
	.set .L__ockl_printf_append_string_n.numbered_sgpr, 32
	.set .L__ockl_printf_append_string_n.num_named_barrier, 0
	.set .L__ockl_printf_append_string_n.private_seg_size, 0
	.set .L__ockl_printf_append_string_n.uses_vcc, 1
	.set .L__ockl_printf_append_string_n.uses_flat_scratch, 0
	.set .L__ockl_printf_append_string_n.has_dyn_sized_stack, 0
	.set .L__ockl_printf_append_string_n.has_recursion, 0
	.set .L__ockl_printf_append_string_n.has_indirect_call, 0
	.section	.AMDGPU.csdata,"",@progbits
; Function info:
; codeLenInByte = 4348
; TotalNumSgprs: 34
; NumVgprs: 50
; ScratchSize: 0
; MemoryBound: 0
	.text
	.p2align	2                               ; -- Begin function __ockl_printf_append_args
	.type	__ockl_printf_append_args,@function
__ockl_printf_append_args:              ; @__ockl_printf_append_args
; %bb.0:
	s_wait_loadcnt_dscnt 0x0
	s_wait_kmcnt 0x0
	s_load_b64 s[2:3], s[8:9], 0x50
	v_mbcnt_lo_u32_b32 v5, -1, 0
	v_mov_b64_e32 v[12:13], 0
	s_delay_alu instid0(VALU_DEP_2) | instskip(NEXT) | instid1(VALU_DEP_1)
	v_readfirstlane_b32 s0, v5
	v_cmp_eq_u32_e64 s0, s0, v5
	s_and_saveexec_b32 s1, s0
	s_cbranch_execz .LBB6_6
; %bb.1:
	v_mov_b32_e32 v6, 0
	s_mov_b32 s4, exec_lo
	s_wait_kmcnt 0x0
	global_load_b64 v[10:11], v6, s[2:3] offset:24 scope:SCOPE_SYS
	s_wait_loadcnt 0x0
	global_inv scope:SCOPE_SYS
	s_clause 0x1
	global_load_b64 v[8:9], v6, s[2:3] offset:40
	global_load_b64 v[12:13], v6, s[2:3]
	s_wait_loadcnt 0x1
	v_and_b32_e32 v8, v8, v10
	v_and_b32_e32 v9, v9, v11
	s_delay_alu instid0(VALU_DEP_1) | instskip(SKIP_1) | instid1(VALU_DEP_1)
	v_mul_u64_e32 v[8:9], 24, v[8:9]
	s_wait_loadcnt 0x0
	v_add_nc_u64_e32 v[8:9], v[12:13], v[8:9]
	global_load_b64 v[8:9], v[8:9], off scope:SCOPE_SYS
	s_wait_xcnt 0x0
	s_wait_loadcnt 0x0
	global_atomic_cmpswap_b64 v[12:13], v6, v[8:11], s[2:3] offset:24 th:TH_ATOMIC_RETURN scope:SCOPE_SYS
	s_wait_loadcnt 0x0
	global_inv scope:SCOPE_SYS
	s_wait_xcnt 0x0
	v_cmpx_ne_u64_e64 v[12:13], v[10:11]
	s_cbranch_execz .LBB6_5
; %bb.2:
	s_mov_b32 s5, 0
.LBB6_3:                                ; =>This Inner Loop Header: Depth=1
	s_sleep 1
	s_clause 0x1
	global_load_b64 v[8:9], v6, s[2:3] offset:40
	global_load_b64 v[14:15], v6, s[2:3]
	v_mov_b64_e32 v[10:11], v[12:13]
	s_wait_loadcnt 0x1
	s_delay_alu instid0(VALU_DEP_1) | instskip(SKIP_1) | instid1(VALU_DEP_1)
	v_and_b32_e32 v7, v8, v10
	s_wait_loadcnt 0x0
	v_mad_nc_u64_u32 v[12:13], v7, 24, v[14:15]
	s_delay_alu instid0(VALU_DEP_3) | instskip(NEXT) | instid1(VALU_DEP_1)
	v_and_b32_e32 v7, v9, v11
	v_mad_u32 v13, v7, 24, v13
	global_load_b64 v[8:9], v[12:13], off scope:SCOPE_SYS
	s_wait_xcnt 0x0
	s_wait_loadcnt 0x0
	global_atomic_cmpswap_b64 v[12:13], v6, v[8:11], s[2:3] offset:24 th:TH_ATOMIC_RETURN scope:SCOPE_SYS
	s_wait_loadcnt 0x0
	global_inv scope:SCOPE_SYS
	v_cmp_eq_u64_e32 vcc_lo, v[12:13], v[10:11]
	s_or_b32 s5, vcc_lo, s5
	s_wait_xcnt 0x0
	s_and_not1_b32 exec_lo, exec_lo, s5
	s_cbranch_execnz .LBB6_3
; %bb.4:
	s_or_b32 exec_lo, exec_lo, s5
.LBB6_5:
	s_delay_alu instid0(SALU_CYCLE_1)
	s_or_b32 exec_lo, exec_lo, s4
.LBB6_6:
	s_delay_alu instid0(SALU_CYCLE_1)
	s_or_b32 exec_lo, exec_lo, s1
	v_readfirstlane_b32 s4, v12
	v_mov_b32_e32 v11, 0
	v_readfirstlane_b32 s5, v13
	s_mov_b32 s1, exec_lo
	s_wait_kmcnt 0x0
	s_clause 0x1
	global_load_b64 v[14:15], v11, s[2:3] offset:40
	global_load_b128 v[6:9], v11, s[2:3]
	s_wait_loadcnt 0x1
	v_and_b32_e32 v16, s4, v14
	v_and_b32_e32 v17, s5, v15
	s_delay_alu instid0(VALU_DEP_1) | instskip(SKIP_1) | instid1(VALU_DEP_1)
	v_mul_u64_e32 v[12:13], 24, v[16:17]
	s_wait_loadcnt 0x0
	v_add_nc_u64_e32 v[14:15], v[6:7], v[12:13]
	s_wait_xcnt 0x0
	s_and_saveexec_b32 s6, s0
	s_cbranch_execz .LBB6_8
; %bb.7:
	v_mov_b64_e32 v[12:13], 0x100000002
	v_mov_b32_e32 v10, s1
	global_store_b128 v[14:15], v[10:13], off offset:8
.LBB6_8:
	s_wait_xcnt 0x0
	s_or_b32 exec_lo, exec_lo, s6
	v_lshlrev_b64_e32 v[10:11], 12, v[16:17]
	v_or_b32_e32 v12, 2, v0
	v_cmp_eq_u32_e32 vcc_lo, 0, v4
	s_mov_b32 s8, 0
	v_lshlrev_b32_e32 v4, 6, v5
	s_mov_b32 s9, s8
	s_mov_b32 s10, s8
	v_add_nc_u64_e32 v[8:9], v[8:9], v[10:11]
	v_cndmask_b32_e32 v0, v12, v0, vcc_lo
	s_mov_b32 s11, s8
	s_delay_alu instid0(VALU_DEP_1) | instskip(NEXT) | instid1(VALU_DEP_3)
	v_and_or_b32 v0, 0xffffff1f, v0, 32
	v_readfirstlane_b32 s6, v8
	s_delay_alu instid0(VALU_DEP_4)
	v_readfirstlane_b32 s7, v9
	v_mov_b64_e32 v[8:9], s[8:9]
	v_mov_b64_e32 v[10:11], s[10:11]
	s_clause 0x3
	global_store_b128 v4, v[0:3], s[6:7]
	global_store_b128 v4, v[8:11], s[6:7] offset:16
	global_store_b128 v4, v[8:11], s[6:7] offset:32
	;; [unrolled: 1-line block ×3, first 2 shown]
	s_wait_xcnt 0x0
	s_and_saveexec_b32 s1, s0
	s_cbranch_execz .LBB6_16
; %bb.9:
	v_dual_mov_b32 v8, 0 :: v_dual_mov_b32 v11, s5
	s_mov_b32 s6, exec_lo
	s_clause 0x1
	global_load_b64 v[12:13], v8, s[2:3] offset:32 scope:SCOPE_SYS
	global_load_b64 v[0:1], v8, s[2:3] offset:40
	s_wait_loadcnt 0x0
	v_dual_mov_b32 v10, s4 :: v_dual_bitop2_b32 v1, s5, v1 bitop3:0x40
	v_and_b32_e32 v0, s4, v0
	s_delay_alu instid0(VALU_DEP_1) | instskip(NEXT) | instid1(VALU_DEP_1)
	v_mul_u64_e32 v[0:1], 24, v[0:1]
	v_add_nc_u64_e32 v[4:5], v[6:7], v[0:1]
	global_store_b64 v[4:5], v[12:13], off
	global_wb scope:SCOPE_SYS
	s_wait_storecnt 0x0
	s_wait_xcnt 0x0
	global_atomic_cmpswap_b64 v[2:3], v8, v[10:13], s[2:3] offset:32 th:TH_ATOMIC_RETURN scope:SCOPE_SYS
	s_wait_loadcnt 0x0
	v_cmpx_ne_u64_e64 v[2:3], v[12:13]
	s_cbranch_execz .LBB6_12
; %bb.10:
	s_mov_b32 s7, 0
.LBB6_11:                               ; =>This Inner Loop Header: Depth=1
	v_dual_mov_b32 v0, s4 :: v_dual_mov_b32 v1, s5
	s_sleep 1
	global_store_b64 v[4:5], v[2:3], off
	global_wb scope:SCOPE_SYS
	s_wait_storecnt 0x0
	s_wait_xcnt 0x0
	global_atomic_cmpswap_b64 v[0:1], v8, v[0:3], s[2:3] offset:32 th:TH_ATOMIC_RETURN scope:SCOPE_SYS
	s_wait_loadcnt 0x0
	v_cmp_eq_u64_e32 vcc_lo, v[0:1], v[2:3]
	v_mov_b64_e32 v[2:3], v[0:1]
	s_or_b32 s7, vcc_lo, s7
	s_delay_alu instid0(SALU_CYCLE_1)
	s_and_not1_b32 exec_lo, exec_lo, s7
	s_cbranch_execnz .LBB6_11
.LBB6_12:
	s_or_b32 exec_lo, exec_lo, s6
	v_mov_b32_e32 v3, 0
	s_mov_b32 s7, exec_lo
	s_mov_b32 s6, exec_lo
	v_mbcnt_lo_u32_b32 v2, s7, 0
	global_load_b64 v[0:1], v3, s[2:3] offset:16
	s_wait_xcnt 0x0
	v_cmpx_eq_u32_e32 0, v2
	s_cbranch_execz .LBB6_14
; %bb.13:
	s_bcnt1_i32_b32 s7, s7
	s_delay_alu instid0(SALU_CYCLE_1)
	v_mov_b32_e32 v2, s7
	global_wb scope:SCOPE_SYS
	s_wait_loadcnt 0x0
	s_wait_storecnt 0x0
	global_atomic_add_u64 v[0:1], v[2:3], off offset:8 scope:SCOPE_SYS
.LBB6_14:
	s_wait_xcnt 0x0
	s_or_b32 exec_lo, exec_lo, s6
	s_wait_loadcnt 0x0
	global_load_b64 v[2:3], v[0:1], off offset:16
	s_wait_loadcnt 0x0
	v_cmp_eq_u64_e32 vcc_lo, 0, v[2:3]
	s_cbranch_vccnz .LBB6_16
; %bb.15:
	global_load_b32 v0, v[0:1], off offset:24
	s_wait_xcnt 0x0
	v_mov_b32_e32 v1, 0
	s_wait_loadcnt 0x0
	v_readfirstlane_b32 s6, v0
	global_wb scope:SCOPE_SYS
	s_wait_storecnt 0x0
	global_store_b64 v[2:3], v[0:1], off scope:SCOPE_SYS
	s_and_b32 m0, s6, 0xffffff
	s_sendmsg sendmsg(MSG_INTERRUPT)
.LBB6_16:
	s_wait_xcnt 0x0
	s_or_b32 exec_lo, exec_lo, s1
	s_branch .LBB6_20
.LBB6_17:                               ;   in Loop: Header=BB6_20 Depth=1
	s_wait_xcnt 0x0
	s_or_b32 exec_lo, exec_lo, s1
	s_delay_alu instid0(VALU_DEP_1)
	v_readfirstlane_b32 s1, v0
	s_cmp_eq_u32 s1, 0
	s_cbranch_scc1 .LBB6_19
; %bb.18:                               ;   in Loop: Header=BB6_20 Depth=1
	s_sleep 1
	s_cbranch_execnz .LBB6_20
	s_branch .LBB6_22
.LBB6_19:
	s_branch .LBB6_22
.LBB6_20:                               ; =>This Inner Loop Header: Depth=1
	v_mov_b32_e32 v0, 1
	s_and_saveexec_b32 s1, s0
	s_cbranch_execz .LBB6_17
; %bb.21:                               ;   in Loop: Header=BB6_20 Depth=1
	global_load_b32 v0, v[14:15], off offset:20 scope:SCOPE_SYS
	s_wait_loadcnt 0x0
	global_inv scope:SCOPE_SYS
	v_and_b32_e32 v0, 1, v0
	s_branch .LBB6_17
.LBB6_22:
	s_and_saveexec_b32 s6, s0
	s_cbranch_execz .LBB6_26
; %bb.23:
	v_mov_b32_e32 v6, 0
	s_clause 0x2
	global_load_b64 v[0:1], v6, s[2:3] offset:40
	global_load_b64 v[10:11], v6, s[2:3] offset:24 scope:SCOPE_SYS
	global_load_b64 v[2:3], v6, s[2:3]
	s_wait_loadcnt 0x2
	v_readfirstlane_b32 s8, v0
	v_readfirstlane_b32 s9, v1
	s_add_nc_u64 s[0:1], s[8:9], 1
	s_delay_alu instid0(SALU_CYCLE_1) | instskip(NEXT) | instid1(SALU_CYCLE_1)
	s_add_nc_u64 s[4:5], s[0:1], s[4:5]
	s_cmp_eq_u64 s[4:5], 0
	s_cselect_b32 s1, s1, s5
	s_cselect_b32 s0, s0, s4
	v_mov_b32_e32 v9, s1
	s_and_b64 s[4:5], s[0:1], s[8:9]
	v_mov_b32_e32 v8, s0
	s_mul_u64 s[4:5], s[4:5], 24
	s_wait_loadcnt 0x0
	v_add_nc_u64_e32 v[4:5], s[4:5], v[2:3]
	global_store_b64 v[4:5], v[10:11], off
	global_wb scope:SCOPE_SYS
	s_wait_storecnt 0x0
	s_wait_xcnt 0x0
	global_atomic_cmpswap_b64 v[2:3], v6, v[8:11], s[2:3] offset:24 th:TH_ATOMIC_RETURN scope:SCOPE_SYS
	s_wait_loadcnt 0x0
	v_cmp_ne_u64_e32 vcc_lo, v[2:3], v[10:11]
	s_and_b32 exec_lo, exec_lo, vcc_lo
	s_cbranch_execz .LBB6_26
; %bb.24:
	s_mov_b32 s4, 0
.LBB6_25:                               ; =>This Inner Loop Header: Depth=1
	v_dual_mov_b32 v0, s0 :: v_dual_mov_b32 v1, s1
	s_sleep 1
	global_store_b64 v[4:5], v[2:3], off
	global_wb scope:SCOPE_SYS
	s_wait_storecnt 0x0
	s_wait_xcnt 0x0
	global_atomic_cmpswap_b64 v[0:1], v6, v[0:3], s[2:3] offset:24 th:TH_ATOMIC_RETURN scope:SCOPE_SYS
	s_wait_loadcnt 0x0
	v_cmp_eq_u64_e32 vcc_lo, v[0:1], v[2:3]
	v_mov_b64_e32 v[2:3], v[0:1]
	s_or_b32 s4, vcc_lo, s4
	s_delay_alu instid0(SALU_CYCLE_1)
	s_and_not1_b32 exec_lo, exec_lo, s4
	s_cbranch_execnz .LBB6_25
.LBB6_26:
	s_or_b32 exec_lo, exec_lo, s6
	s_wait_loadcnt 0x0
	s_wait_kmcnt 0x0
	s_set_pc_i64 s[30:31]
.Lfunc_end6:
	.size	__ockl_printf_append_args, .Lfunc_end6-__ockl_printf_append_args
                                        ; -- End function
	.set .L__ockl_printf_append_args.num_vgpr, 18
	.set .L__ockl_printf_append_args.num_agpr, 0
	.set .L__ockl_printf_append_args.numbered_sgpr, 32
	.set .L__ockl_printf_append_args.num_named_barrier, 0
	.set .L__ockl_printf_append_args.private_seg_size, 0
	.set .L__ockl_printf_append_args.uses_vcc, 1
	.set .L__ockl_printf_append_args.uses_flat_scratch, 0
	.set .L__ockl_printf_append_args.has_dyn_sized_stack, 0
	.set .L__ockl_printf_append_args.has_recursion, 0
	.set .L__ockl_printf_append_args.has_indirect_call, 0
	.section	.AMDGPU.csdata,"",@progbits
; Function info:
; codeLenInByte = 1436
; TotalNumSgprs: 34
; NumVgprs: 18
; ScratchSize: 0
; MemoryBound: 0
	.text
	.p2align	2                               ; -- Begin function _ZL14no_device_codePKciS0_iS0_
	.type	_ZL14no_device_codePKciS0_iS0_,@function
_ZL14no_device_codePKciS0_iS0_:         ; @_ZL14no_device_codePKciS0_iS0_
; %bb.0:
	s_wait_loadcnt_dscnt 0x0
	s_wait_kmcnt 0x0
	s_mov_b32 s20, s33
	s_mov_b32 s33, s32
	s_or_saveexec_b32 s0, -1
	scratch_store_b32 off, v40, s33         ; 4-byte Folded Spill
	s_wait_xcnt 0x0
	s_mov_b32 exec_lo, s0
	v_writelane_b32 v40, s30, 0
	s_add_co_i32 s32, s32, 16
	v_writelane_b32 v40, s31, 1
	s_load_b64 s[2:3], s[8:9], 0x50
	v_mbcnt_lo_u32_b32 v29, -1, 0
	v_mov_b64_e32 v[2:3], 0
	s_delay_alu instid0(VALU_DEP_2) | instskip(NEXT) | instid1(VALU_DEP_1)
	v_readfirstlane_b32 s0, v29
	v_cmp_eq_u32_e64 s0, s0, v29
	s_and_saveexec_b32 s1, s0
	s_cbranch_execz .LBB7_6
; %bb.1:
	v_mov_b32_e32 v0, 0
	s_mov_b32 s4, exec_lo
	s_wait_kmcnt 0x0
	global_load_b64 v[4:5], v0, s[2:3] offset:24 scope:SCOPE_SYS
	s_wait_loadcnt 0x0
	global_inv scope:SCOPE_SYS
	s_clause 0x1
	global_load_b64 v[2:3], v0, s[2:3] offset:40
	global_load_b64 v[6:7], v0, s[2:3]
	s_wait_loadcnt 0x1
	v_and_b32_e32 v2, v2, v4
	v_and_b32_e32 v3, v3, v5
	s_delay_alu instid0(VALU_DEP_1) | instskip(SKIP_1) | instid1(VALU_DEP_1)
	v_mul_u64_e32 v[2:3], 24, v[2:3]
	s_wait_loadcnt 0x0
	v_add_nc_u64_e32 v[2:3], v[6:7], v[2:3]
	global_load_b64 v[2:3], v[2:3], off scope:SCOPE_SYS
	s_wait_xcnt 0x0
	s_wait_loadcnt 0x0
	global_atomic_cmpswap_b64 v[2:3], v0, v[2:5], s[2:3] offset:24 th:TH_ATOMIC_RETURN scope:SCOPE_SYS
	s_wait_loadcnt 0x0
	global_inv scope:SCOPE_SYS
	s_wait_xcnt 0x0
	v_cmpx_ne_u64_e64 v[2:3], v[4:5]
	s_cbranch_execz .LBB7_5
; %bb.2:
	s_mov_b32 s5, 0
.LBB7_3:                                ; =>This Inner Loop Header: Depth=1
	s_sleep 1
	s_clause 0x1
	global_load_b64 v[6:7], v0, s[2:3] offset:40
	global_load_b64 v[8:9], v0, s[2:3]
	v_mov_b64_e32 v[4:5], v[2:3]
	s_wait_loadcnt 0x1
	s_delay_alu instid0(VALU_DEP_1) | instskip(SKIP_1) | instid1(VALU_DEP_1)
	v_and_b32_e32 v1, v6, v4
	s_wait_loadcnt 0x0
	v_mad_nc_u64_u32 v[2:3], v1, 24, v[8:9]
	s_delay_alu instid0(VALU_DEP_3) | instskip(NEXT) | instid1(VALU_DEP_1)
	v_and_b32_e32 v1, v7, v5
	v_mad_u32 v3, v1, 24, v3
	global_load_b64 v[2:3], v[2:3], off scope:SCOPE_SYS
	s_wait_xcnt 0x0
	s_wait_loadcnt 0x0
	global_atomic_cmpswap_b64 v[2:3], v0, v[2:5], s[2:3] offset:24 th:TH_ATOMIC_RETURN scope:SCOPE_SYS
	s_wait_loadcnt 0x0
	global_inv scope:SCOPE_SYS
	v_cmp_eq_u64_e32 vcc_lo, v[2:3], v[4:5]
	s_or_b32 s5, vcc_lo, s5
	s_wait_xcnt 0x0
	s_and_not1_b32 exec_lo, exec_lo, s5
	s_cbranch_execnz .LBB7_3
; %bb.4:
	s_or_b32 exec_lo, exec_lo, s5
.LBB7_5:
	s_delay_alu instid0(SALU_CYCLE_1)
	s_or_b32 exec_lo, exec_lo, s4
.LBB7_6:
	s_delay_alu instid0(SALU_CYCLE_1)
	s_or_b32 exec_lo, exec_lo, s1
	v_readfirstlane_b32 s4, v2
	v_mov_b32_e32 v1, 0
	v_readfirstlane_b32 s5, v3
	s_mov_b32 s1, exec_lo
	s_wait_kmcnt 0x0
	s_clause 0x1
	global_load_b64 v[8:9], v1, s[2:3] offset:40
	global_load_b128 v[4:7], v1, s[2:3]
	s_wait_loadcnt 0x1
	v_and_b32_e32 v10, s4, v8
	v_and_b32_e32 v11, s5, v9
	s_delay_alu instid0(VALU_DEP_1) | instskip(SKIP_1) | instid1(VALU_DEP_1)
	v_mul_u64_e32 v[2:3], 24, v[10:11]
	s_wait_loadcnt 0x0
	v_add_nc_u64_e32 v[8:9], v[4:5], v[2:3]
	s_wait_xcnt 0x0
	s_and_saveexec_b32 s6, s0
	s_cbranch_execz .LBB7_8
; %bb.7:
	v_mov_b64_e32 v[2:3], 0x100000002
	v_mov_b32_e32 v0, s1
	global_store_b128 v[8:9], v[0:3], off offset:8
.LBB7_8:
	s_wait_xcnt 0x0
	s_or_b32 exec_lo, exec_lo, s6
	v_lshlrev_b64_e32 v[2:3], 12, v[10:11]
	s_mov_b32 s12, 0
	v_dual_lshlrev_b32 v0, 6, v29 :: v_dual_mov_b32 v10, 33
	s_mov_b32 s14, s12
	s_mov_b32 s15, s12
	;; [unrolled: 1-line block ×3, first 2 shown]
	s_delay_alu instid0(VALU_DEP_2)
	v_add_nc_u64_e32 v[6:7], v[6:7], v[2:3]
	v_mov_b64_e32 v[16:17], s[14:15]
	v_mov_b64_e32 v[14:15], s[12:13]
	v_dual_mov_b32 v11, v1 :: v_dual_mov_b32 v12, v1
	v_mov_b32_e32 v13, v1
	v_readfirstlane_b32 s6, v6
	v_readfirstlane_b32 s7, v7
	s_clause 0x3
	global_store_b128 v0, v[10:13], s[6:7]
	global_store_b128 v0, v[14:17], s[6:7] offset:16
	global_store_b128 v0, v[14:17], s[6:7] offset:32
	;; [unrolled: 1-line block ×3, first 2 shown]
	s_wait_xcnt 0x0
	s_and_saveexec_b32 s1, s0
	s_cbranch_execz .LBB7_16
; %bb.9:
	v_dual_mov_b32 v12, 0 :: v_dual_mov_b32 v15, s5
	s_mov_b32 s6, exec_lo
	s_clause 0x1
	global_load_b64 v[16:17], v12, s[2:3] offset:32 scope:SCOPE_SYS
	global_load_b64 v[2:3], v12, s[2:3] offset:40
	s_wait_loadcnt 0x0
	v_dual_mov_b32 v14, s4 :: v_dual_bitop2_b32 v3, s5, v3 bitop3:0x40
	v_and_b32_e32 v2, s4, v2
	s_delay_alu instid0(VALU_DEP_1) | instskip(NEXT) | instid1(VALU_DEP_1)
	v_mul_u64_e32 v[2:3], 24, v[2:3]
	v_add_nc_u64_e32 v[10:11], v[4:5], v[2:3]
	global_store_b64 v[10:11], v[16:17], off
	global_wb scope:SCOPE_SYS
	s_wait_storecnt 0x0
	s_wait_xcnt 0x0
	global_atomic_cmpswap_b64 v[4:5], v12, v[14:17], s[2:3] offset:32 th:TH_ATOMIC_RETURN scope:SCOPE_SYS
	s_wait_loadcnt 0x0
	v_cmpx_ne_u64_e64 v[4:5], v[16:17]
	s_cbranch_execz .LBB7_12
; %bb.10:
	s_mov_b32 s7, 0
.LBB7_11:                               ; =>This Inner Loop Header: Depth=1
	v_dual_mov_b32 v2, s4 :: v_dual_mov_b32 v3, s5
	s_sleep 1
	global_store_b64 v[10:11], v[4:5], off
	global_wb scope:SCOPE_SYS
	s_wait_storecnt 0x0
	s_wait_xcnt 0x0
	global_atomic_cmpswap_b64 v[2:3], v12, v[2:5], s[2:3] offset:32 th:TH_ATOMIC_RETURN scope:SCOPE_SYS
	s_wait_loadcnt 0x0
	v_cmp_eq_u64_e32 vcc_lo, v[2:3], v[4:5]
	v_mov_b64_e32 v[4:5], v[2:3]
	s_or_b32 s7, vcc_lo, s7
	s_delay_alu instid0(SALU_CYCLE_1)
	s_and_not1_b32 exec_lo, exec_lo, s7
	s_cbranch_execnz .LBB7_11
.LBB7_12:
	s_or_b32 exec_lo, exec_lo, s6
	v_mov_b32_e32 v5, 0
	s_mov_b32 s7, exec_lo
	s_mov_b32 s6, exec_lo
	v_mbcnt_lo_u32_b32 v4, s7, 0
	global_load_b64 v[2:3], v5, s[2:3] offset:16
	s_wait_xcnt 0x0
	v_cmpx_eq_u32_e32 0, v4
	s_cbranch_execz .LBB7_14
; %bb.13:
	s_bcnt1_i32_b32 s7, s7
	s_delay_alu instid0(SALU_CYCLE_1)
	v_mov_b32_e32 v4, s7
	global_wb scope:SCOPE_SYS
	s_wait_loadcnt 0x0
	s_wait_storecnt 0x0
	global_atomic_add_u64 v[2:3], v[4:5], off offset:8 scope:SCOPE_SYS
.LBB7_14:
	s_wait_xcnt 0x0
	s_or_b32 exec_lo, exec_lo, s6
	s_wait_loadcnt 0x0
	global_load_b64 v[4:5], v[2:3], off offset:16
	s_wait_loadcnt 0x0
	v_cmp_eq_u64_e32 vcc_lo, 0, v[4:5]
	s_cbranch_vccnz .LBB7_16
; %bb.15:
	global_load_b32 v2, v[2:3], off offset:24
	s_wait_xcnt 0x0
	v_mov_b32_e32 v3, 0
	s_wait_loadcnt 0x0
	v_readfirstlane_b32 s6, v2
	global_wb scope:SCOPE_SYS
	s_wait_storecnt 0x0
	global_store_b64 v[4:5], v[2:3], off scope:SCOPE_SYS
	s_and_b32 m0, s6, 0xffffff
	s_sendmsg sendmsg(MSG_INTERRUPT)
.LBB7_16:
	s_wait_xcnt 0x0
	s_or_b32 exec_lo, exec_lo, s1
	v_add_nc_u64_e32 v[2:3], v[6:7], v[0:1]
	s_branch .LBB7_20
.LBB7_17:                               ;   in Loop: Header=BB7_20 Depth=1
	s_wait_xcnt 0x0
	s_or_b32 exec_lo, exec_lo, s1
	s_delay_alu instid0(VALU_DEP_1)
	v_readfirstlane_b32 s1, v1
	s_cmp_eq_u32 s1, 0
	s_cbranch_scc1 .LBB7_19
; %bb.18:                               ;   in Loop: Header=BB7_20 Depth=1
	s_sleep 1
	s_cbranch_execnz .LBB7_20
	s_branch .LBB7_22
.LBB7_19:
	s_branch .LBB7_22
.LBB7_20:                               ; =>This Inner Loop Header: Depth=1
	v_mov_b32_e32 v1, 1
	s_and_saveexec_b32 s1, s0
	s_cbranch_execz .LBB7_17
; %bb.21:                               ;   in Loop: Header=BB7_20 Depth=1
	global_load_b32 v1, v[8:9], off offset:20 scope:SCOPE_SYS
	s_wait_loadcnt 0x0
	global_inv scope:SCOPE_SYS
	v_and_b32_e32 v1, 1, v1
	s_branch .LBB7_17
.LBB7_22:
	global_load_b64 v[6:7], v[2:3], off
	s_wait_xcnt 0x0
	s_and_saveexec_b32 s6, s0
	s_cbranch_execz .LBB7_26
; %bb.23:
	v_mov_b32_e32 v1, 0
	s_clause 0x2
	global_load_b64 v[2:3], v1, s[2:3] offset:40
	global_load_b64 v[12:13], v1, s[2:3] offset:24 scope:SCOPE_SYS
	global_load_b64 v[4:5], v1, s[2:3]
	s_wait_loadcnt 0x2
	v_readfirstlane_b32 s10, v2
	v_readfirstlane_b32 s11, v3
	s_add_nc_u64 s[0:1], s[10:11], 1
	s_delay_alu instid0(SALU_CYCLE_1) | instskip(NEXT) | instid1(SALU_CYCLE_1)
	s_add_nc_u64 s[4:5], s[0:1], s[4:5]
	s_cmp_eq_u64 s[4:5], 0
	s_cselect_b32 s1, s1, s5
	s_cselect_b32 s0, s0, s4
	v_mov_b32_e32 v11, s1
	s_and_b64 s[4:5], s[0:1], s[10:11]
	v_mov_b32_e32 v10, s0
	s_mul_u64 s[4:5], s[4:5], 24
	s_wait_loadcnt 0x0
	v_add_nc_u64_e32 v[8:9], s[4:5], v[4:5]
	global_store_b64 v[8:9], v[12:13], off
	global_wb scope:SCOPE_SYS
	s_wait_storecnt 0x0
	s_wait_xcnt 0x0
	global_atomic_cmpswap_b64 v[4:5], v1, v[10:13], s[2:3] offset:24 th:TH_ATOMIC_RETURN scope:SCOPE_SYS
	s_wait_loadcnt 0x0
	v_cmp_ne_u64_e32 vcc_lo, v[4:5], v[12:13]
	s_and_b32 exec_lo, exec_lo, vcc_lo
	s_cbranch_execz .LBB7_26
; %bb.24:
	s_mov_b32 s4, 0
.LBB7_25:                               ; =>This Inner Loop Header: Depth=1
	v_dual_mov_b32 v2, s0 :: v_dual_mov_b32 v3, s1
	s_sleep 1
	global_store_b64 v[8:9], v[4:5], off
	global_wb scope:SCOPE_SYS
	s_wait_storecnt 0x0
	s_wait_xcnt 0x0
	global_atomic_cmpswap_b64 v[2:3], v1, v[2:5], s[2:3] offset:24 th:TH_ATOMIC_RETURN scope:SCOPE_SYS
	s_wait_loadcnt 0x0
	v_cmp_eq_u64_e32 vcc_lo, v[2:3], v[4:5]
	v_mov_b64_e32 v[4:5], v[2:3]
	s_or_b32 s4, vcc_lo, s4
	s_delay_alu instid0(SALU_CYCLE_1)
	s_and_not1_b32 exec_lo, exec_lo, s4
	s_cbranch_execnz .LBB7_25
.LBB7_26:
	s_or_b32 exec_lo, exec_lo, s6
	s_get_pc_i64 s[4:5]
	s_add_nc_u64 s[4:5], s[4:5], .str.5@rel64+4
	s_delay_alu instid0(SALU_CYCLE_1)
	s_cmp_lg_u64 s[4:5], 0
	s_cbranch_scc0 .LBB7_104
; %bb.27:
	v_mov_b64_e32 v[10:11], 0x100000002
	s_wait_loadcnt 0x0
	v_dual_mov_b32 v9, 0 :: v_dual_bitop2_b32 v28, 2, v6 bitop3:0x40
	v_dual_mov_b32 v3, v7 :: v_dual_bitop2_b32 v2, -3, v6 bitop3:0x40
	s_mov_b64 s[6:7], 0x4d
	s_branch .LBB7_29
.LBB7_28:                               ;   in Loop: Header=BB7_29 Depth=1
	s_or_b32 exec_lo, exec_lo, s14
	s_sub_nc_u64 s[6:7], s[6:7], s[10:11]
	s_add_nc_u64 s[4:5], s[4:5], s[10:11]
	s_cmp_lg_u64 s[6:7], 0
	s_cbranch_scc0 .LBB7_105
.LBB7_29:                               ; =>This Loop Header: Depth=1
                                        ;     Child Loop BB7_32 Depth 2
                                        ;     Child Loop BB7_39 Depth 2
	;; [unrolled: 1-line block ×11, first 2 shown]
	v_min_u64 v[4:5], s[6:7], 56
	v_cmp_gt_u64_e64 s0, s[6:7], 7
	s_and_b32 vcc_lo, exec_lo, s0
	v_readfirstlane_b32 s10, v4
	v_readfirstlane_b32 s11, v5
	s_cbranch_vccnz .LBB7_34
; %bb.30:                               ;   in Loop: Header=BB7_29 Depth=1
	v_mov_b64_e32 v[4:5], 0
	s_cmp_eq_u64 s[6:7], 0
	s_cbranch_scc1 .LBB7_33
; %bb.31:                               ;   in Loop: Header=BB7_29 Depth=1
	s_mov_b64 s[0:1], 0
	s_mov_b64 s[12:13], 0
.LBB7_32:                               ;   Parent Loop BB7_29 Depth=1
                                        ; =>  This Inner Loop Header: Depth=2
	s_wait_xcnt 0x0
	s_add_nc_u64 s[14:15], s[4:5], s[12:13]
	s_add_nc_u64 s[12:13], s[12:13], 1
	global_load_u8 v1, v9, s[14:15]
	s_cmp_lg_u32 s10, s12
	s_wait_loadcnt 0x0
	v_and_b32_e32 v8, 0xffff, v1
	s_delay_alu instid0(VALU_DEP_1) | instskip(SKIP_1) | instid1(VALU_DEP_1)
	v_lshlrev_b64_e32 v[12:13], s0, v[8:9]
	s_add_nc_u64 s[0:1], s[0:1], 8
	v_or_b32_e32 v4, v12, v4
	s_delay_alu instid0(VALU_DEP_2)
	v_or_b32_e32 v5, v13, v5
	s_cbranch_scc1 .LBB7_32
.LBB7_33:                               ;   in Loop: Header=BB7_29 Depth=1
	s_mov_b64 s[12:13], s[4:5]
	s_mov_b32 s16, 0
	s_cbranch_execz .LBB7_35
	s_branch .LBB7_36
.LBB7_34:                               ;   in Loop: Header=BB7_29 Depth=1
	s_add_nc_u64 s[12:13], s[4:5], 8
	s_mov_b32 s16, 0
.LBB7_35:                               ;   in Loop: Header=BB7_29 Depth=1
	global_load_b64 v[4:5], v9, s[4:5]
	s_add_co_i32 s16, s10, -8
.LBB7_36:                               ;   in Loop: Header=BB7_29 Depth=1
	s_delay_alu instid0(SALU_CYCLE_1)
	s_cmp_gt_u32 s16, 7
	s_cbranch_scc1 .LBB7_41
; %bb.37:                               ;   in Loop: Header=BB7_29 Depth=1
	v_mov_b64_e32 v[12:13], 0
	s_cmp_eq_u32 s16, 0
	s_cbranch_scc1 .LBB7_40
; %bb.38:                               ;   in Loop: Header=BB7_29 Depth=1
	s_mov_b64 s[0:1], 0
	s_wait_xcnt 0x0
	s_mov_b64 s[14:15], 0
.LBB7_39:                               ;   Parent Loop BB7_29 Depth=1
                                        ; =>  This Inner Loop Header: Depth=2
	s_wait_xcnt 0x0
	s_add_nc_u64 s[18:19], s[12:13], s[14:15]
	s_add_nc_u64 s[14:15], s[14:15], 1
	global_load_u8 v1, v9, s[18:19]
	s_cmp_lg_u32 s16, s14
	s_wait_loadcnt 0x0
	v_and_b32_e32 v8, 0xffff, v1
	s_delay_alu instid0(VALU_DEP_1) | instskip(SKIP_1) | instid1(VALU_DEP_1)
	v_lshlrev_b64_e32 v[14:15], s0, v[8:9]
	s_add_nc_u64 s[0:1], s[0:1], 8
	v_or_b32_e32 v12, v14, v12
	s_delay_alu instid0(VALU_DEP_2)
	v_or_b32_e32 v13, v15, v13
	s_cbranch_scc1 .LBB7_39
.LBB7_40:                               ;   in Loop: Header=BB7_29 Depth=1
	s_wait_xcnt 0x0
	s_mov_b64 s[0:1], s[12:13]
	s_mov_b32 s17, 0
	s_cbranch_execz .LBB7_42
	s_branch .LBB7_43
.LBB7_41:                               ;   in Loop: Header=BB7_29 Depth=1
	s_add_nc_u64 s[0:1], s[12:13], 8
	s_wait_xcnt 0x0
                                        ; implicit-def: $vgpr12_vgpr13
	s_mov_b32 s17, 0
.LBB7_42:                               ;   in Loop: Header=BB7_29 Depth=1
	global_load_b64 v[12:13], v9, s[12:13]
	s_add_co_i32 s17, s16, -8
.LBB7_43:                               ;   in Loop: Header=BB7_29 Depth=1
	s_delay_alu instid0(SALU_CYCLE_1)
	s_cmp_gt_u32 s17, 7
	s_cbranch_scc1 .LBB7_48
; %bb.44:                               ;   in Loop: Header=BB7_29 Depth=1
	v_mov_b64_e32 v[14:15], 0
	s_cmp_eq_u32 s17, 0
	s_cbranch_scc1 .LBB7_47
; %bb.45:                               ;   in Loop: Header=BB7_29 Depth=1
	s_wait_xcnt 0x0
	s_mov_b64 s[12:13], 0
	s_mov_b64 s[14:15], 0
.LBB7_46:                               ;   Parent Loop BB7_29 Depth=1
                                        ; =>  This Inner Loop Header: Depth=2
	s_wait_xcnt 0x0
	s_add_nc_u64 s[18:19], s[0:1], s[14:15]
	s_add_nc_u64 s[14:15], s[14:15], 1
	global_load_u8 v1, v9, s[18:19]
	s_cmp_lg_u32 s17, s14
	s_wait_loadcnt 0x0
	v_and_b32_e32 v8, 0xffff, v1
	s_delay_alu instid0(VALU_DEP_1) | instskip(SKIP_1) | instid1(VALU_DEP_1)
	v_lshlrev_b64_e32 v[16:17], s12, v[8:9]
	s_add_nc_u64 s[12:13], s[12:13], 8
	v_or_b32_e32 v14, v16, v14
	s_delay_alu instid0(VALU_DEP_2)
	v_or_b32_e32 v15, v17, v15
	s_cbranch_scc1 .LBB7_46
.LBB7_47:                               ;   in Loop: Header=BB7_29 Depth=1
	s_wait_xcnt 0x0
	s_mov_b64 s[12:13], s[0:1]
	s_mov_b32 s16, 0
	s_cbranch_execz .LBB7_49
	s_branch .LBB7_50
.LBB7_48:                               ;   in Loop: Header=BB7_29 Depth=1
	s_wait_xcnt 0x0
	s_add_nc_u64 s[12:13], s[0:1], 8
	s_mov_b32 s16, 0
.LBB7_49:                               ;   in Loop: Header=BB7_29 Depth=1
	global_load_b64 v[14:15], v9, s[0:1]
	s_add_co_i32 s16, s17, -8
.LBB7_50:                               ;   in Loop: Header=BB7_29 Depth=1
	s_delay_alu instid0(SALU_CYCLE_1)
	s_cmp_gt_u32 s16, 7
	s_cbranch_scc1 .LBB7_55
; %bb.51:                               ;   in Loop: Header=BB7_29 Depth=1
	v_mov_b64_e32 v[16:17], 0
	s_cmp_eq_u32 s16, 0
	s_cbranch_scc1 .LBB7_54
; %bb.52:                               ;   in Loop: Header=BB7_29 Depth=1
	s_wait_xcnt 0x0
	s_mov_b64 s[0:1], 0
	s_mov_b64 s[14:15], 0
.LBB7_53:                               ;   Parent Loop BB7_29 Depth=1
                                        ; =>  This Inner Loop Header: Depth=2
	s_wait_xcnt 0x0
	s_add_nc_u64 s[18:19], s[12:13], s[14:15]
	s_add_nc_u64 s[14:15], s[14:15], 1
	global_load_u8 v1, v9, s[18:19]
	s_cmp_lg_u32 s16, s14
	s_wait_loadcnt 0x0
	v_and_b32_e32 v8, 0xffff, v1
	s_delay_alu instid0(VALU_DEP_1) | instskip(SKIP_1) | instid1(VALU_DEP_1)
	v_lshlrev_b64_e32 v[18:19], s0, v[8:9]
	s_add_nc_u64 s[0:1], s[0:1], 8
	v_or_b32_e32 v16, v18, v16
	s_delay_alu instid0(VALU_DEP_2)
	v_or_b32_e32 v17, v19, v17
	s_cbranch_scc1 .LBB7_53
.LBB7_54:                               ;   in Loop: Header=BB7_29 Depth=1
	s_wait_xcnt 0x0
	s_mov_b64 s[0:1], s[12:13]
	s_mov_b32 s17, 0
	s_cbranch_execz .LBB7_56
	s_branch .LBB7_57
.LBB7_55:                               ;   in Loop: Header=BB7_29 Depth=1
	s_wait_xcnt 0x0
	s_add_nc_u64 s[0:1], s[12:13], 8
                                        ; implicit-def: $vgpr16_vgpr17
	s_mov_b32 s17, 0
.LBB7_56:                               ;   in Loop: Header=BB7_29 Depth=1
	global_load_b64 v[16:17], v9, s[12:13]
	s_add_co_i32 s17, s16, -8
.LBB7_57:                               ;   in Loop: Header=BB7_29 Depth=1
	s_delay_alu instid0(SALU_CYCLE_1)
	s_cmp_gt_u32 s17, 7
	s_cbranch_scc1 .LBB7_62
; %bb.58:                               ;   in Loop: Header=BB7_29 Depth=1
	v_mov_b64_e32 v[18:19], 0
	s_cmp_eq_u32 s17, 0
	s_cbranch_scc1 .LBB7_61
; %bb.59:                               ;   in Loop: Header=BB7_29 Depth=1
	s_wait_xcnt 0x0
	s_mov_b64 s[12:13], 0
	s_mov_b64 s[14:15], 0
.LBB7_60:                               ;   Parent Loop BB7_29 Depth=1
                                        ; =>  This Inner Loop Header: Depth=2
	s_wait_xcnt 0x0
	s_add_nc_u64 s[18:19], s[0:1], s[14:15]
	s_add_nc_u64 s[14:15], s[14:15], 1
	global_load_u8 v1, v9, s[18:19]
	s_cmp_lg_u32 s17, s14
	s_wait_loadcnt 0x0
	v_and_b32_e32 v8, 0xffff, v1
	s_delay_alu instid0(VALU_DEP_1) | instskip(SKIP_1) | instid1(VALU_DEP_1)
	v_lshlrev_b64_e32 v[20:21], s12, v[8:9]
	s_add_nc_u64 s[12:13], s[12:13], 8
	v_or_b32_e32 v18, v20, v18
	s_delay_alu instid0(VALU_DEP_2)
	v_or_b32_e32 v19, v21, v19
	s_cbranch_scc1 .LBB7_60
.LBB7_61:                               ;   in Loop: Header=BB7_29 Depth=1
	s_wait_xcnt 0x0
	s_mov_b64 s[12:13], s[0:1]
	s_mov_b32 s16, 0
	s_cbranch_execz .LBB7_63
	s_branch .LBB7_64
.LBB7_62:                               ;   in Loop: Header=BB7_29 Depth=1
	s_wait_xcnt 0x0
	s_add_nc_u64 s[12:13], s[0:1], 8
	s_mov_b32 s16, 0
.LBB7_63:                               ;   in Loop: Header=BB7_29 Depth=1
	global_load_b64 v[18:19], v9, s[0:1]
	s_add_co_i32 s16, s17, -8
.LBB7_64:                               ;   in Loop: Header=BB7_29 Depth=1
	s_delay_alu instid0(SALU_CYCLE_1)
	s_cmp_gt_u32 s16, 7
	s_cbranch_scc1 .LBB7_69
; %bb.65:                               ;   in Loop: Header=BB7_29 Depth=1
	v_mov_b64_e32 v[20:21], 0
	s_cmp_eq_u32 s16, 0
	s_cbranch_scc1 .LBB7_68
; %bb.66:                               ;   in Loop: Header=BB7_29 Depth=1
	s_wait_xcnt 0x0
	s_mov_b64 s[0:1], 0
	s_mov_b64 s[14:15], 0
.LBB7_67:                               ;   Parent Loop BB7_29 Depth=1
                                        ; =>  This Inner Loop Header: Depth=2
	s_wait_xcnt 0x0
	s_add_nc_u64 s[18:19], s[12:13], s[14:15]
	s_add_nc_u64 s[14:15], s[14:15], 1
	global_load_u8 v1, v9, s[18:19]
	s_cmp_lg_u32 s16, s14
	s_wait_loadcnt 0x0
	v_and_b32_e32 v8, 0xffff, v1
	s_delay_alu instid0(VALU_DEP_1) | instskip(SKIP_1) | instid1(VALU_DEP_1)
	v_lshlrev_b64_e32 v[22:23], s0, v[8:9]
	s_add_nc_u64 s[0:1], s[0:1], 8
	v_or_b32_e32 v20, v22, v20
	s_delay_alu instid0(VALU_DEP_2)
	v_or_b32_e32 v21, v23, v21
	s_cbranch_scc1 .LBB7_67
.LBB7_68:                               ;   in Loop: Header=BB7_29 Depth=1
	s_wait_xcnt 0x0
	s_mov_b64 s[0:1], s[12:13]
	s_mov_b32 s17, 0
	s_cbranch_execz .LBB7_70
	s_branch .LBB7_71
.LBB7_69:                               ;   in Loop: Header=BB7_29 Depth=1
	s_wait_xcnt 0x0
	s_add_nc_u64 s[0:1], s[12:13], 8
                                        ; implicit-def: $vgpr20_vgpr21
	s_mov_b32 s17, 0
.LBB7_70:                               ;   in Loop: Header=BB7_29 Depth=1
	global_load_b64 v[20:21], v9, s[12:13]
	s_add_co_i32 s17, s16, -8
.LBB7_71:                               ;   in Loop: Header=BB7_29 Depth=1
	s_delay_alu instid0(SALU_CYCLE_1)
	s_cmp_gt_u32 s17, 7
	s_cbranch_scc1 .LBB7_76
; %bb.72:                               ;   in Loop: Header=BB7_29 Depth=1
	v_mov_b64_e32 v[22:23], 0
	s_cmp_eq_u32 s17, 0
	s_cbranch_scc1 .LBB7_75
; %bb.73:                               ;   in Loop: Header=BB7_29 Depth=1
	s_wait_xcnt 0x0
	s_mov_b64 s[12:13], 0
	s_mov_b64 s[14:15], s[0:1]
.LBB7_74:                               ;   Parent Loop BB7_29 Depth=1
                                        ; =>  This Inner Loop Header: Depth=2
	global_load_u8 v1, v9, s[14:15]
	s_add_co_i32 s17, s17, -1
	s_wait_xcnt 0x0
	s_add_nc_u64 s[14:15], s[14:15], 1
	s_cmp_lg_u32 s17, 0
	s_wait_loadcnt 0x0
	v_and_b32_e32 v8, 0xffff, v1
	s_delay_alu instid0(VALU_DEP_1) | instskip(SKIP_1) | instid1(VALU_DEP_1)
	v_lshlrev_b64_e32 v[24:25], s12, v[8:9]
	s_add_nc_u64 s[12:13], s[12:13], 8
	v_or_b32_e32 v22, v24, v22
	s_delay_alu instid0(VALU_DEP_2)
	v_or_b32_e32 v23, v25, v23
	s_cbranch_scc1 .LBB7_74
.LBB7_75:                               ;   in Loop: Header=BB7_29 Depth=1
	s_wait_xcnt 0x0
	s_cbranch_execz .LBB7_77
	s_branch .LBB7_78
.LBB7_76:                               ;   in Loop: Header=BB7_29 Depth=1
	s_wait_xcnt 0x0
.LBB7_77:                               ;   in Loop: Header=BB7_29 Depth=1
	global_load_b64 v[22:23], v9, s[0:1]
.LBB7_78:                               ;   in Loop: Header=BB7_29 Depth=1
	s_wait_xcnt 0x0
	v_readfirstlane_b32 s0, v29
	v_mov_b64_e32 v[30:31], 0
	s_delay_alu instid0(VALU_DEP_2)
	v_cmp_eq_u32_e64 s0, s0, v29
	s_and_saveexec_b32 s1, s0
	s_cbranch_execz .LBB7_84
; %bb.79:                               ;   in Loop: Header=BB7_29 Depth=1
	global_load_b64 v[26:27], v9, s[2:3] offset:24 scope:SCOPE_SYS
	s_wait_loadcnt 0x0
	global_inv scope:SCOPE_SYS
	s_clause 0x1
	global_load_b64 v[24:25], v9, s[2:3] offset:40
	global_load_b64 v[30:31], v9, s[2:3]
	s_mov_b32 s12, exec_lo
	s_wait_loadcnt 0x1
	v_and_b32_e32 v24, v24, v26
	v_and_b32_e32 v25, v25, v27
	s_delay_alu instid0(VALU_DEP_1) | instskip(SKIP_1) | instid1(VALU_DEP_1)
	v_mul_u64_e32 v[24:25], 24, v[24:25]
	s_wait_loadcnt 0x0
	v_add_nc_u64_e32 v[24:25], v[30:31], v[24:25]
	global_load_b64 v[24:25], v[24:25], off scope:SCOPE_SYS
	s_wait_xcnt 0x0
	s_wait_loadcnt 0x0
	global_atomic_cmpswap_b64 v[30:31], v9, v[24:27], s[2:3] offset:24 th:TH_ATOMIC_RETURN scope:SCOPE_SYS
	s_wait_loadcnt 0x0
	global_inv scope:SCOPE_SYS
	s_wait_xcnt 0x0
	v_cmpx_ne_u64_e64 v[30:31], v[26:27]
	s_cbranch_execz .LBB7_83
; %bb.80:                               ;   in Loop: Header=BB7_29 Depth=1
	s_mov_b32 s13, 0
.LBB7_81:                               ;   Parent Loop BB7_29 Depth=1
                                        ; =>  This Inner Loop Header: Depth=2
	s_sleep 1
	s_clause 0x1
	global_load_b64 v[24:25], v9, s[2:3] offset:40
	global_load_b64 v[32:33], v9, s[2:3]
	v_mov_b64_e32 v[26:27], v[30:31]
	s_wait_loadcnt 0x1
	s_delay_alu instid0(VALU_DEP_1) | instskip(SKIP_1) | instid1(VALU_DEP_1)
	v_and_b32_e32 v1, v24, v26
	s_wait_loadcnt 0x0
	v_mad_nc_u64_u32 v[30:31], v1, 24, v[32:33]
	s_delay_alu instid0(VALU_DEP_3) | instskip(NEXT) | instid1(VALU_DEP_1)
	v_and_b32_e32 v1, v25, v27
	v_mad_u32 v31, v1, 24, v31
	global_load_b64 v[24:25], v[30:31], off scope:SCOPE_SYS
	s_wait_xcnt 0x0
	s_wait_loadcnt 0x0
	global_atomic_cmpswap_b64 v[30:31], v9, v[24:27], s[2:3] offset:24 th:TH_ATOMIC_RETURN scope:SCOPE_SYS
	s_wait_loadcnt 0x0
	global_inv scope:SCOPE_SYS
	v_cmp_eq_u64_e32 vcc_lo, v[30:31], v[26:27]
	s_or_b32 s13, vcc_lo, s13
	s_wait_xcnt 0x0
	s_and_not1_b32 exec_lo, exec_lo, s13
	s_cbranch_execnz .LBB7_81
; %bb.82:                               ;   in Loop: Header=BB7_29 Depth=1
	s_or_b32 exec_lo, exec_lo, s13
.LBB7_83:                               ;   in Loop: Header=BB7_29 Depth=1
	s_delay_alu instid0(SALU_CYCLE_1)
	s_or_b32 exec_lo, exec_lo, s12
.LBB7_84:                               ;   in Loop: Header=BB7_29 Depth=1
	s_delay_alu instid0(SALU_CYCLE_1)
	s_or_b32 exec_lo, exec_lo, s1
	s_clause 0x1
	global_load_b64 v[32:33], v9, s[2:3] offset:40
	global_load_b128 v[24:27], v9, s[2:3]
	v_readfirstlane_b32 s12, v30
	v_readfirstlane_b32 s13, v31
	s_mov_b32 s1, exec_lo
	s_wait_loadcnt 0x1
	v_and_b32_e32 v32, s12, v32
	v_and_b32_e32 v33, s13, v33
	s_delay_alu instid0(VALU_DEP_1) | instskip(SKIP_1) | instid1(VALU_DEP_1)
	v_mul_u64_e32 v[30:31], 24, v[32:33]
	s_wait_loadcnt 0x0
	v_add_nc_u64_e32 v[30:31], v[24:25], v[30:31]
	s_wait_xcnt 0x0
	s_and_saveexec_b32 s14, s0
	s_cbranch_execz .LBB7_86
; %bb.85:                               ;   in Loop: Header=BB7_29 Depth=1
	v_mov_b32_e32 v8, s1
	global_store_b128 v[30:31], v[8:11], off offset:8
.LBB7_86:                               ;   in Loop: Header=BB7_29 Depth=1
	s_wait_xcnt 0x0
	s_or_b32 exec_lo, exec_lo, s14
	v_cmp_lt_u64_e64 vcc_lo, s[6:7], 57
	v_lshlrev_b64_e32 v[32:33], 12, v[32:33]
	v_and_b32_e32 v2, 0xffffff1f, v2
	s_lshl_b32 s1, s10, 2
	s_delay_alu instid0(SALU_CYCLE_1) | instskip(SKIP_1) | instid1(VALU_DEP_3)
	s_add_co_i32 s1, s1, 28
	v_cndmask_b32_e32 v1, 0, v28, vcc_lo
	v_add_nc_u64_e32 v[26:27], v[26:27], v[32:33]
	s_delay_alu instid0(VALU_DEP_2) | instskip(NEXT) | instid1(VALU_DEP_2)
	v_or_b32_e32 v1, v2, v1
	v_readfirstlane_b32 s14, v26
	s_delay_alu instid0(VALU_DEP_3) | instskip(NEXT) | instid1(VALU_DEP_3)
	v_readfirstlane_b32 s15, v27
	v_and_or_b32 v2, 0x1e0, s1, v1
	s_clause 0x3
	global_store_b128 v0, v[2:5], s[14:15]
	global_store_b128 v0, v[12:15], s[14:15] offset:16
	global_store_b128 v0, v[16:19], s[14:15] offset:32
	;; [unrolled: 1-line block ×3, first 2 shown]
	s_wait_xcnt 0x0
	s_and_saveexec_b32 s1, s0
	s_cbranch_execz .LBB7_94
; %bb.87:                               ;   in Loop: Header=BB7_29 Depth=1
	s_clause 0x1
	global_load_b64 v[16:17], v9, s[2:3] offset:32 scope:SCOPE_SYS
	global_load_b64 v[2:3], v9, s[2:3] offset:40
	s_mov_b32 s14, exec_lo
	v_dual_mov_b32 v14, s12 :: v_dual_mov_b32 v15, s13
	s_wait_loadcnt 0x0
	v_and_b32_e32 v3, s13, v3
	v_and_b32_e32 v2, s12, v2
	s_delay_alu instid0(VALU_DEP_1) | instskip(NEXT) | instid1(VALU_DEP_1)
	v_mul_u64_e32 v[2:3], 24, v[2:3]
	v_add_nc_u64_e32 v[12:13], v[24:25], v[2:3]
	global_store_b64 v[12:13], v[16:17], off
	global_wb scope:SCOPE_SYS
	s_wait_storecnt 0x0
	s_wait_xcnt 0x0
	global_atomic_cmpswap_b64 v[4:5], v9, v[14:17], s[2:3] offset:32 th:TH_ATOMIC_RETURN scope:SCOPE_SYS
	s_wait_loadcnt 0x0
	v_cmpx_ne_u64_e64 v[4:5], v[16:17]
	s_cbranch_execz .LBB7_90
; %bb.88:                               ;   in Loop: Header=BB7_29 Depth=1
	s_mov_b32 s15, 0
.LBB7_89:                               ;   Parent Loop BB7_29 Depth=1
                                        ; =>  This Inner Loop Header: Depth=2
	v_dual_mov_b32 v2, s12 :: v_dual_mov_b32 v3, s13
	s_sleep 1
	global_store_b64 v[12:13], v[4:5], off
	global_wb scope:SCOPE_SYS
	s_wait_storecnt 0x0
	s_wait_xcnt 0x0
	global_atomic_cmpswap_b64 v[2:3], v9, v[2:5], s[2:3] offset:32 th:TH_ATOMIC_RETURN scope:SCOPE_SYS
	s_wait_loadcnt 0x0
	v_cmp_eq_u64_e32 vcc_lo, v[2:3], v[4:5]
	v_mov_b64_e32 v[4:5], v[2:3]
	s_or_b32 s15, vcc_lo, s15
	s_delay_alu instid0(SALU_CYCLE_1)
	s_and_not1_b32 exec_lo, exec_lo, s15
	s_cbranch_execnz .LBB7_89
.LBB7_90:                               ;   in Loop: Header=BB7_29 Depth=1
	s_or_b32 exec_lo, exec_lo, s14
	global_load_b64 v[2:3], v9, s[2:3] offset:16
	s_mov_b32 s15, exec_lo
	s_mov_b32 s14, exec_lo
	v_mbcnt_lo_u32_b32 v1, s15, 0
	s_wait_xcnt 0x0
	s_delay_alu instid0(VALU_DEP_1)
	v_cmpx_eq_u32_e32 0, v1
	s_cbranch_execz .LBB7_92
; %bb.91:                               ;   in Loop: Header=BB7_29 Depth=1
	s_bcnt1_i32_b32 s15, s15
	s_delay_alu instid0(SALU_CYCLE_1)
	v_mov_b32_e32 v8, s15
	global_wb scope:SCOPE_SYS
	s_wait_loadcnt 0x0
	s_wait_storecnt 0x0
	global_atomic_add_u64 v[2:3], v[8:9], off offset:8 scope:SCOPE_SYS
.LBB7_92:                               ;   in Loop: Header=BB7_29 Depth=1
	s_wait_xcnt 0x0
	s_or_b32 exec_lo, exec_lo, s14
	s_wait_loadcnt 0x0
	global_load_b64 v[4:5], v[2:3], off offset:16
	s_wait_loadcnt 0x0
	v_cmp_eq_u64_e32 vcc_lo, 0, v[4:5]
	s_cbranch_vccnz .LBB7_94
; %bb.93:                               ;   in Loop: Header=BB7_29 Depth=1
	global_load_b32 v8, v[2:3], off offset:24
	s_wait_loadcnt 0x0
	v_readfirstlane_b32 s14, v8
	global_wb scope:SCOPE_SYS
	s_wait_storecnt 0x0
	s_wait_xcnt 0x0
	global_store_b64 v[4:5], v[8:9], off scope:SCOPE_SYS
	s_and_b32 m0, s14, 0xffffff
	s_sendmsg sendmsg(MSG_INTERRUPT)
.LBB7_94:                               ;   in Loop: Header=BB7_29 Depth=1
	s_wait_xcnt 0x0
	s_or_b32 exec_lo, exec_lo, s1
	v_mov_b32_e32 v1, v9
	s_delay_alu instid0(VALU_DEP_1)
	v_add_nc_u64_e32 v[2:3], v[26:27], v[0:1]
	s_branch .LBB7_98
.LBB7_95:                               ;   in Loop: Header=BB7_98 Depth=2
	s_wait_xcnt 0x0
	s_or_b32 exec_lo, exec_lo, s1
	s_delay_alu instid0(VALU_DEP_1)
	v_readfirstlane_b32 s1, v1
	s_cmp_eq_u32 s1, 0
	s_cbranch_scc1 .LBB7_97
; %bb.96:                               ;   in Loop: Header=BB7_98 Depth=2
	s_sleep 1
	s_cbranch_execnz .LBB7_98
	s_branch .LBB7_100
.LBB7_97:                               ;   in Loop: Header=BB7_29 Depth=1
	s_branch .LBB7_100
.LBB7_98:                               ;   Parent Loop BB7_29 Depth=1
                                        ; =>  This Inner Loop Header: Depth=2
	v_mov_b32_e32 v1, 1
	s_and_saveexec_b32 s1, s0
	s_cbranch_execz .LBB7_95
; %bb.99:                               ;   in Loop: Header=BB7_98 Depth=2
	global_load_b32 v1, v[30:31], off offset:20 scope:SCOPE_SYS
	s_wait_loadcnt 0x0
	global_inv scope:SCOPE_SYS
	v_and_b32_e32 v1, 1, v1
	s_branch .LBB7_95
.LBB7_100:                              ;   in Loop: Header=BB7_29 Depth=1
	global_load_b64 v[2:3], v[2:3], off
	s_wait_xcnt 0x0
	s_and_saveexec_b32 s14, s0
	s_cbranch_execz .LBB7_28
; %bb.101:                              ;   in Loop: Header=BB7_29 Depth=1
	s_clause 0x2
	global_load_b64 v[4:5], v9, s[2:3] offset:40
	global_load_b64 v[16:17], v9, s[2:3] offset:24 scope:SCOPE_SYS
	global_load_b64 v[12:13], v9, s[2:3]
	s_wait_loadcnt 0x2
	v_readfirstlane_b32 s16, v4
	v_readfirstlane_b32 s17, v5
	s_add_nc_u64 s[0:1], s[16:17], 1
	s_delay_alu instid0(SALU_CYCLE_1) | instskip(NEXT) | instid1(SALU_CYCLE_1)
	s_add_nc_u64 s[12:13], s[0:1], s[12:13]
	s_cmp_eq_u64 s[12:13], 0
	s_cselect_b32 s1, s1, s13
	s_cselect_b32 s0, s0, s12
	s_delay_alu instid0(SALU_CYCLE_1) | instskip(SKIP_1) | instid1(SALU_CYCLE_1)
	v_dual_mov_b32 v15, s1 :: v_dual_mov_b32 v14, s0
	s_and_b64 s[12:13], s[0:1], s[16:17]
	s_mul_u64 s[12:13], s[12:13], 24
	s_wait_loadcnt 0x0
	v_add_nc_u64_e32 v[4:5], s[12:13], v[12:13]
	global_store_b64 v[4:5], v[16:17], off
	global_wb scope:SCOPE_SYS
	s_wait_storecnt 0x0
	s_wait_xcnt 0x0
	global_atomic_cmpswap_b64 v[14:15], v9, v[14:17], s[2:3] offset:24 th:TH_ATOMIC_RETURN scope:SCOPE_SYS
	s_wait_loadcnt 0x0
	v_cmp_ne_u64_e32 vcc_lo, v[14:15], v[16:17]
	s_and_b32 exec_lo, exec_lo, vcc_lo
	s_cbranch_execz .LBB7_28
; %bb.102:                              ;   in Loop: Header=BB7_29 Depth=1
	s_mov_b32 s12, 0
.LBB7_103:                              ;   Parent Loop BB7_29 Depth=1
                                        ; =>  This Inner Loop Header: Depth=2
	v_dual_mov_b32 v12, s0 :: v_dual_mov_b32 v13, s1
	s_sleep 1
	global_store_b64 v[4:5], v[14:15], off
	global_wb scope:SCOPE_SYS
	s_wait_storecnt 0x0
	s_wait_xcnt 0x0
	global_atomic_cmpswap_b64 v[12:13], v9, v[12:15], s[2:3] offset:24 th:TH_ATOMIC_RETURN scope:SCOPE_SYS
	s_wait_loadcnt 0x0
	v_cmp_eq_u64_e32 vcc_lo, v[12:13], v[14:15]
	v_mov_b64_e32 v[14:15], v[12:13]
	s_or_b32 s12, vcc_lo, s12
	s_delay_alu instid0(SALU_CYCLE_1)
	s_and_not1_b32 exec_lo, exec_lo, s12
	s_cbranch_execnz .LBB7_103
	s_branch .LBB7_28
.LBB7_104:
                                        ; implicit-def: $vgpr2_vgpr3
	s_cbranch_execnz .LBB7_106
	s_branch .LBB7_133
.LBB7_105:
	s_branch .LBB7_133
.LBB7_106:
	v_readfirstlane_b32 s0, v29
	v_mov_b64_e32 v[8:9], 0
	s_delay_alu instid0(VALU_DEP_2)
	v_cmp_eq_u32_e64 s0, s0, v29
	s_and_saveexec_b32 s1, s0
	s_cbranch_execz .LBB7_112
; %bb.107:
	v_mov_b32_e32 v1, 0
	s_mov_b32 s4, exec_lo
	global_load_b64 v[4:5], v1, s[2:3] offset:24 scope:SCOPE_SYS
	s_wait_loadcnt 0x0
	global_inv scope:SCOPE_SYS
	s_clause 0x1
	global_load_b64 v[2:3], v1, s[2:3] offset:40
	global_load_b64 v[8:9], v1, s[2:3]
	s_wait_loadcnt 0x1
	v_and_b32_e32 v2, v2, v4
	v_and_b32_e32 v3, v3, v5
	s_delay_alu instid0(VALU_DEP_1) | instskip(SKIP_1) | instid1(VALU_DEP_1)
	v_mul_u64_e32 v[2:3], 24, v[2:3]
	s_wait_loadcnt 0x0
	v_add_nc_u64_e32 v[2:3], v[8:9], v[2:3]
	global_load_b64 v[2:3], v[2:3], off scope:SCOPE_SYS
	s_wait_xcnt 0x0
	s_wait_loadcnt 0x0
	global_atomic_cmpswap_b64 v[8:9], v1, v[2:5], s[2:3] offset:24 th:TH_ATOMIC_RETURN scope:SCOPE_SYS
	s_wait_loadcnt 0x0
	global_inv scope:SCOPE_SYS
	s_wait_xcnt 0x0
	v_cmpx_ne_u64_e64 v[8:9], v[4:5]
	s_cbranch_execz .LBB7_111
; %bb.108:
	s_mov_b32 s5, 0
.LBB7_109:                              ; =>This Inner Loop Header: Depth=1
	s_sleep 1
	s_clause 0x1
	global_load_b64 v[2:3], v1, s[2:3] offset:40
	global_load_b64 v[10:11], v1, s[2:3]
	v_mov_b64_e32 v[4:5], v[8:9]
	s_wait_loadcnt 0x1
	s_delay_alu instid0(VALU_DEP_1) | instskip(SKIP_1) | instid1(VALU_DEP_1)
	v_and_b32_e32 v2, v2, v4
	s_wait_loadcnt 0x0
	v_mad_nc_u64_u32 v[8:9], v2, 24, v[10:11]
	s_delay_alu instid0(VALU_DEP_3) | instskip(NEXT) | instid1(VALU_DEP_1)
	v_and_b32_e32 v2, v3, v5
	v_mad_u32 v9, v2, 24, v9
	global_load_b64 v[2:3], v[8:9], off scope:SCOPE_SYS
	s_wait_xcnt 0x0
	s_wait_loadcnt 0x0
	global_atomic_cmpswap_b64 v[8:9], v1, v[2:5], s[2:3] offset:24 th:TH_ATOMIC_RETURN scope:SCOPE_SYS
	s_wait_loadcnt 0x0
	global_inv scope:SCOPE_SYS
	v_cmp_eq_u64_e32 vcc_lo, v[8:9], v[4:5]
	s_or_b32 s5, vcc_lo, s5
	s_wait_xcnt 0x0
	s_and_not1_b32 exec_lo, exec_lo, s5
	s_cbranch_execnz .LBB7_109
; %bb.110:
	s_or_b32 exec_lo, exec_lo, s5
.LBB7_111:
	s_delay_alu instid0(SALU_CYCLE_1)
	s_or_b32 exec_lo, exec_lo, s4
.LBB7_112:
	s_delay_alu instid0(SALU_CYCLE_1)
	s_or_b32 exec_lo, exec_lo, s1
	v_readfirstlane_b32 s4, v8
	v_mov_b32_e32 v1, 0
	v_readfirstlane_b32 s5, v9
	s_mov_b32 s1, exec_lo
	global_load_b64 v[10:11], v1, s[2:3] offset:40
	s_wait_loadcnt 0x1
	global_load_b128 v[2:5], v1, s[2:3]
	s_wait_loadcnt 0x1
	v_and_b32_e32 v8, s4, v10
	v_and_b32_e32 v9, s5, v11
	s_delay_alu instid0(VALU_DEP_1) | instskip(SKIP_1) | instid1(VALU_DEP_1)
	v_mul_u64_e32 v[10:11], 24, v[8:9]
	s_wait_loadcnt 0x0
	v_add_nc_u64_e32 v[10:11], v[2:3], v[10:11]
	s_wait_xcnt 0x0
	s_and_saveexec_b32 s6, s0
	s_cbranch_execz .LBB7_114
; %bb.113:
	v_mov_b64_e32 v[14:15], 0x100000002
	v_dual_mov_b32 v12, s1 :: v_dual_mov_b32 v13, v1
	global_store_b128 v[10:11], v[12:15], off offset:8
.LBB7_114:
	s_wait_xcnt 0x0
	s_or_b32 exec_lo, exec_lo, s6
	v_lshlrev_b64_e32 v[8:9], 12, v[8:9]
	s_mov_b32 s12, 0
	v_and_or_b32 v6, 0xffffff1f, v6, 32
	s_mov_b32 s14, s12
	s_mov_b32 s15, s12
	;; [unrolled: 1-line block ×3, first 2 shown]
	v_mov_b64_e32 v[16:17], s[14:15]
	v_add_nc_u64_e32 v[12:13], v[4:5], v[8:9]
	v_mov_b64_e32 v[14:15], s[12:13]
	v_dual_mov_b32 v8, v1 :: v_dual_mov_b32 v9, v1
	s_delay_alu instid0(VALU_DEP_3) | instskip(NEXT) | instid1(VALU_DEP_4)
	v_readfirstlane_b32 s6, v12
	v_readfirstlane_b32 s7, v13
	s_clause 0x3
	global_store_b128 v0, v[6:9], s[6:7]
	global_store_b128 v0, v[14:17], s[6:7] offset:16
	global_store_b128 v0, v[14:17], s[6:7] offset:32
	;; [unrolled: 1-line block ×3, first 2 shown]
	s_wait_xcnt 0x0
	s_and_saveexec_b32 s1, s0
	s_cbranch_execz .LBB7_122
; %bb.115:
	v_dual_mov_b32 v8, 0 :: v_dual_mov_b32 v15, s5
	s_mov_b32 s6, exec_lo
	s_clause 0x1
	global_load_b64 v[16:17], v8, s[2:3] offset:32 scope:SCOPE_SYS
	global_load_b64 v[4:5], v8, s[2:3] offset:40
	s_wait_loadcnt 0x0
	v_dual_mov_b32 v14, s4 :: v_dual_bitop2_b32 v5, s5, v5 bitop3:0x40
	v_and_b32_e32 v4, s4, v4
	s_delay_alu instid0(VALU_DEP_1) | instskip(NEXT) | instid1(VALU_DEP_1)
	v_mul_u64_e32 v[4:5], 24, v[4:5]
	v_add_nc_u64_e32 v[6:7], v[2:3], v[4:5]
	global_store_b64 v[6:7], v[16:17], off
	global_wb scope:SCOPE_SYS
	s_wait_storecnt 0x0
	s_wait_xcnt 0x0
	global_atomic_cmpswap_b64 v[4:5], v8, v[14:17], s[2:3] offset:32 th:TH_ATOMIC_RETURN scope:SCOPE_SYS
	s_wait_loadcnt 0x0
	v_cmpx_ne_u64_e64 v[4:5], v[16:17]
	s_cbranch_execz .LBB7_118
; %bb.116:
	s_mov_b32 s7, 0
.LBB7_117:                              ; =>This Inner Loop Header: Depth=1
	v_dual_mov_b32 v2, s4 :: v_dual_mov_b32 v3, s5
	s_sleep 1
	global_store_b64 v[6:7], v[4:5], off
	global_wb scope:SCOPE_SYS
	s_wait_storecnt 0x0
	s_wait_xcnt 0x0
	global_atomic_cmpswap_b64 v[2:3], v8, v[2:5], s[2:3] offset:32 th:TH_ATOMIC_RETURN scope:SCOPE_SYS
	s_wait_loadcnt 0x0
	v_cmp_eq_u64_e32 vcc_lo, v[2:3], v[4:5]
	v_mov_b64_e32 v[4:5], v[2:3]
	s_or_b32 s7, vcc_lo, s7
	s_delay_alu instid0(SALU_CYCLE_1)
	s_and_not1_b32 exec_lo, exec_lo, s7
	s_cbranch_execnz .LBB7_117
.LBB7_118:
	s_or_b32 exec_lo, exec_lo, s6
	v_mov_b32_e32 v5, 0
	s_mov_b32 s7, exec_lo
	s_mov_b32 s6, exec_lo
	v_mbcnt_lo_u32_b32 v4, s7, 0
	global_load_b64 v[2:3], v5, s[2:3] offset:16
	s_wait_xcnt 0x0
	v_cmpx_eq_u32_e32 0, v4
	s_cbranch_execz .LBB7_120
; %bb.119:
	s_bcnt1_i32_b32 s7, s7
	s_delay_alu instid0(SALU_CYCLE_1)
	v_mov_b32_e32 v4, s7
	global_wb scope:SCOPE_SYS
	s_wait_loadcnt 0x0
	s_wait_storecnt 0x0
	global_atomic_add_u64 v[2:3], v[4:5], off offset:8 scope:SCOPE_SYS
.LBB7_120:
	s_wait_xcnt 0x0
	s_or_b32 exec_lo, exec_lo, s6
	s_wait_loadcnt 0x0
	global_load_b64 v[4:5], v[2:3], off offset:16
	s_wait_loadcnt 0x0
	v_cmp_eq_u64_e32 vcc_lo, 0, v[4:5]
	s_cbranch_vccnz .LBB7_122
; %bb.121:
	global_load_b32 v2, v[2:3], off offset:24
	s_wait_xcnt 0x0
	v_mov_b32_e32 v3, 0
	s_wait_loadcnt 0x0
	v_readfirstlane_b32 s6, v2
	global_wb scope:SCOPE_SYS
	s_wait_storecnt 0x0
	global_store_b64 v[4:5], v[2:3], off scope:SCOPE_SYS
	s_and_b32 m0, s6, 0xffffff
	s_sendmsg sendmsg(MSG_INTERRUPT)
.LBB7_122:
	s_wait_xcnt 0x0
	s_or_b32 exec_lo, exec_lo, s1
	v_add_nc_u64_e32 v[2:3], v[12:13], v[0:1]
	s_branch .LBB7_126
.LBB7_123:                              ;   in Loop: Header=BB7_126 Depth=1
	s_wait_xcnt 0x0
	s_or_b32 exec_lo, exec_lo, s1
	s_delay_alu instid0(VALU_DEP_1)
	v_readfirstlane_b32 s1, v1
	s_cmp_eq_u32 s1, 0
	s_cbranch_scc1 .LBB7_125
; %bb.124:                              ;   in Loop: Header=BB7_126 Depth=1
	s_sleep 1
	s_cbranch_execnz .LBB7_126
	s_branch .LBB7_128
.LBB7_125:
	s_branch .LBB7_128
.LBB7_126:                              ; =>This Inner Loop Header: Depth=1
	v_mov_b32_e32 v1, 1
	s_and_saveexec_b32 s1, s0
	s_cbranch_execz .LBB7_123
; %bb.127:                              ;   in Loop: Header=BB7_126 Depth=1
	global_load_b32 v1, v[10:11], off offset:20 scope:SCOPE_SYS
	s_wait_loadcnt 0x0
	global_inv scope:SCOPE_SYS
	v_and_b32_e32 v1, 1, v1
	s_branch .LBB7_123
.LBB7_128:
	global_load_b64 v[2:3], v[2:3], off
	s_wait_xcnt 0x0
	s_and_saveexec_b32 s6, s0
	s_cbranch_execz .LBB7_132
; %bb.129:
	v_mov_b32_e32 v1, 0
	s_clause 0x2
	global_load_b64 v[4:5], v1, s[2:3] offset:40
	global_load_b64 v[12:13], v1, s[2:3] offset:24 scope:SCOPE_SYS
	global_load_b64 v[6:7], v1, s[2:3]
	s_wait_loadcnt 0x2
	v_readfirstlane_b32 s10, v4
	v_readfirstlane_b32 s11, v5
	s_add_nc_u64 s[0:1], s[10:11], 1
	s_delay_alu instid0(SALU_CYCLE_1) | instskip(NEXT) | instid1(SALU_CYCLE_1)
	s_add_nc_u64 s[4:5], s[0:1], s[4:5]
	s_cmp_eq_u64 s[4:5], 0
	s_cselect_b32 s1, s1, s5
	s_cselect_b32 s0, s0, s4
	v_mov_b32_e32 v11, s1
	s_and_b64 s[4:5], s[0:1], s[10:11]
	v_mov_b32_e32 v10, s0
	s_mul_u64 s[4:5], s[4:5], 24
	s_wait_loadcnt 0x0
	v_add_nc_u64_e32 v[8:9], s[4:5], v[6:7]
	global_store_b64 v[8:9], v[12:13], off
	global_wb scope:SCOPE_SYS
	s_wait_storecnt 0x0
	s_wait_xcnt 0x0
	global_atomic_cmpswap_b64 v[6:7], v1, v[10:13], s[2:3] offset:24 th:TH_ATOMIC_RETURN scope:SCOPE_SYS
	s_wait_loadcnt 0x0
	v_cmp_ne_u64_e32 vcc_lo, v[6:7], v[12:13]
	s_and_b32 exec_lo, exec_lo, vcc_lo
	s_cbranch_execz .LBB7_132
; %bb.130:
	s_mov_b32 s4, 0
.LBB7_131:                              ; =>This Inner Loop Header: Depth=1
	v_dual_mov_b32 v4, s0 :: v_dual_mov_b32 v5, s1
	s_sleep 1
	global_store_b64 v[8:9], v[6:7], off
	global_wb scope:SCOPE_SYS
	s_wait_storecnt 0x0
	s_wait_xcnt 0x0
	global_atomic_cmpswap_b64 v[4:5], v1, v[4:7], s[2:3] offset:24 th:TH_ATOMIC_RETURN scope:SCOPE_SYS
	s_wait_loadcnt 0x0
	v_cmp_eq_u64_e32 vcc_lo, v[4:5], v[6:7]
	v_mov_b64_e32 v[6:7], v[4:5]
	s_or_b32 s4, vcc_lo, s4
	s_delay_alu instid0(SALU_CYCLE_1)
	s_and_not1_b32 exec_lo, exec_lo, s4
	s_cbranch_execnz .LBB7_131
.LBB7_132:
	s_or_b32 exec_lo, exec_lo, s6
.LBB7_133:
	s_get_pc_i64 s[4:5]
	s_add_nc_u64 s[4:5], s[4:5], .str.3@rel64+4
	s_mov_b64 s[6:7], 0
	s_cmp_lg_u64 s[4:5], 0
	s_cselect_b32 s10, -1, 0
	s_cmp_eq_u64 s[4:5], 0
	s_cbranch_scc1 .LBB7_137
; %bb.134:
	s_get_pc_i64 s[0:1]
	s_add_nc_u64 s[0:1], s[0:1], .str.3@rel64+3
.LBB7_135:                              ; =>This Inner Loop Header: Depth=1
	s_load_u8 s6, s[0:1], 0x1
	s_wait_xcnt 0x0
	s_add_nc_u64 s[0:1], s[0:1], 1
	s_wait_kmcnt 0x0
	s_cmp_lg_u32 s6, 0
	s_cbranch_scc1 .LBB7_135
; %bb.136:
	s_get_pc_i64 s[6:7]
	s_add_nc_u64 s[6:7], s[6:7], .str.3@rel64+4
	s_delay_alu instid0(SALU_CYCLE_1) | instskip(NEXT) | instid1(SALU_CYCLE_1)
	s_sub_nc_u64 s[0:1], s[0:1], s[6:7]
	s_add_nc_u64 s[6:7], s[0:1], 1
.LBB7_137:
	s_and_b32 vcc_lo, exec_lo, s10
	s_cbranch_vccz .LBB7_215
; %bb.138:
	v_mov_b64_e32 v[10:11], 0x100000002
	s_wait_loadcnt 0x0
	v_dual_mov_b32 v9, 0 :: v_dual_bitop2_b32 v28, 2, v2 bitop3:0x40
	v_dual_mov_b32 v5, v3 :: v_dual_bitop2_b32 v4, -3, v2 bitop3:0x40
	s_branch .LBB7_140
.LBB7_139:                              ;   in Loop: Header=BB7_140 Depth=1
	s_or_b32 exec_lo, exec_lo, s14
	s_sub_nc_u64 s[6:7], s[6:7], s[10:11]
	s_add_nc_u64 s[4:5], s[4:5], s[10:11]
	s_cmp_lg_u64 s[6:7], 0
	s_cbranch_scc0 .LBB7_216
.LBB7_140:                              ; =>This Loop Header: Depth=1
                                        ;     Child Loop BB7_143 Depth 2
                                        ;     Child Loop BB7_150 Depth 2
	;; [unrolled: 1-line block ×11, first 2 shown]
	v_min_u64 v[6:7], s[6:7], 56
	v_cmp_gt_u64_e64 s0, s[6:7], 7
	s_and_b32 vcc_lo, exec_lo, s0
	v_readfirstlane_b32 s10, v6
	v_readfirstlane_b32 s11, v7
	s_cbranch_vccnz .LBB7_145
; %bb.141:                              ;   in Loop: Header=BB7_140 Depth=1
	v_mov_b64_e32 v[6:7], 0
	s_cmp_eq_u64 s[6:7], 0
	s_cbranch_scc1 .LBB7_144
; %bb.142:                              ;   in Loop: Header=BB7_140 Depth=1
	s_mov_b64 s[0:1], 0
	s_mov_b64 s[12:13], 0
.LBB7_143:                              ;   Parent Loop BB7_140 Depth=1
                                        ; =>  This Inner Loop Header: Depth=2
	s_wait_xcnt 0x0
	s_add_nc_u64 s[14:15], s[4:5], s[12:13]
	s_add_nc_u64 s[12:13], s[12:13], 1
	global_load_u8 v1, v9, s[14:15]
	s_cmp_lg_u32 s10, s12
	s_wait_loadcnt 0x0
	v_and_b32_e32 v8, 0xffff, v1
	s_delay_alu instid0(VALU_DEP_1) | instskip(SKIP_1) | instid1(VALU_DEP_1)
	v_lshlrev_b64_e32 v[12:13], s0, v[8:9]
	s_add_nc_u64 s[0:1], s[0:1], 8
	v_or_b32_e32 v6, v12, v6
	s_delay_alu instid0(VALU_DEP_2)
	v_or_b32_e32 v7, v13, v7
	s_cbranch_scc1 .LBB7_143
.LBB7_144:                              ;   in Loop: Header=BB7_140 Depth=1
	s_mov_b64 s[12:13], s[4:5]
	s_mov_b32 s16, 0
	s_cbranch_execz .LBB7_146
	s_branch .LBB7_147
.LBB7_145:                              ;   in Loop: Header=BB7_140 Depth=1
	s_add_nc_u64 s[12:13], s[4:5], 8
	s_mov_b32 s16, 0
.LBB7_146:                              ;   in Loop: Header=BB7_140 Depth=1
	global_load_b64 v[6:7], v9, s[4:5]
	s_add_co_i32 s16, s10, -8
.LBB7_147:                              ;   in Loop: Header=BB7_140 Depth=1
	s_delay_alu instid0(SALU_CYCLE_1)
	s_cmp_gt_u32 s16, 7
	s_cbranch_scc1 .LBB7_152
; %bb.148:                              ;   in Loop: Header=BB7_140 Depth=1
	v_mov_b64_e32 v[12:13], 0
	s_cmp_eq_u32 s16, 0
	s_cbranch_scc1 .LBB7_151
; %bb.149:                              ;   in Loop: Header=BB7_140 Depth=1
	s_mov_b64 s[0:1], 0
	s_wait_xcnt 0x0
	s_mov_b64 s[14:15], 0
.LBB7_150:                              ;   Parent Loop BB7_140 Depth=1
                                        ; =>  This Inner Loop Header: Depth=2
	s_wait_xcnt 0x0
	s_add_nc_u64 s[18:19], s[12:13], s[14:15]
	s_add_nc_u64 s[14:15], s[14:15], 1
	global_load_u8 v1, v9, s[18:19]
	s_cmp_lg_u32 s16, s14
	s_wait_loadcnt 0x0
	v_and_b32_e32 v8, 0xffff, v1
	s_delay_alu instid0(VALU_DEP_1) | instskip(SKIP_1) | instid1(VALU_DEP_1)
	v_lshlrev_b64_e32 v[14:15], s0, v[8:9]
	s_add_nc_u64 s[0:1], s[0:1], 8
	v_or_b32_e32 v12, v14, v12
	s_delay_alu instid0(VALU_DEP_2)
	v_or_b32_e32 v13, v15, v13
	s_cbranch_scc1 .LBB7_150
.LBB7_151:                              ;   in Loop: Header=BB7_140 Depth=1
	s_wait_xcnt 0x0
	s_mov_b64 s[0:1], s[12:13]
	s_mov_b32 s17, 0
	s_cbranch_execz .LBB7_153
	s_branch .LBB7_154
.LBB7_152:                              ;   in Loop: Header=BB7_140 Depth=1
	s_add_nc_u64 s[0:1], s[12:13], 8
	s_wait_xcnt 0x0
                                        ; implicit-def: $vgpr12_vgpr13
	s_mov_b32 s17, 0
.LBB7_153:                              ;   in Loop: Header=BB7_140 Depth=1
	global_load_b64 v[12:13], v9, s[12:13]
	s_add_co_i32 s17, s16, -8
.LBB7_154:                              ;   in Loop: Header=BB7_140 Depth=1
	s_delay_alu instid0(SALU_CYCLE_1)
	s_cmp_gt_u32 s17, 7
	s_cbranch_scc1 .LBB7_159
; %bb.155:                              ;   in Loop: Header=BB7_140 Depth=1
	v_mov_b64_e32 v[14:15], 0
	s_cmp_eq_u32 s17, 0
	s_cbranch_scc1 .LBB7_158
; %bb.156:                              ;   in Loop: Header=BB7_140 Depth=1
	s_wait_xcnt 0x0
	s_mov_b64 s[12:13], 0
	s_mov_b64 s[14:15], 0
.LBB7_157:                              ;   Parent Loop BB7_140 Depth=1
                                        ; =>  This Inner Loop Header: Depth=2
	s_wait_xcnt 0x0
	s_add_nc_u64 s[18:19], s[0:1], s[14:15]
	s_add_nc_u64 s[14:15], s[14:15], 1
	global_load_u8 v1, v9, s[18:19]
	s_cmp_lg_u32 s17, s14
	s_wait_loadcnt 0x0
	v_and_b32_e32 v8, 0xffff, v1
	s_delay_alu instid0(VALU_DEP_1) | instskip(SKIP_1) | instid1(VALU_DEP_1)
	v_lshlrev_b64_e32 v[16:17], s12, v[8:9]
	s_add_nc_u64 s[12:13], s[12:13], 8
	v_or_b32_e32 v14, v16, v14
	s_delay_alu instid0(VALU_DEP_2)
	v_or_b32_e32 v15, v17, v15
	s_cbranch_scc1 .LBB7_157
.LBB7_158:                              ;   in Loop: Header=BB7_140 Depth=1
	s_wait_xcnt 0x0
	s_mov_b64 s[12:13], s[0:1]
	s_mov_b32 s16, 0
	s_cbranch_execz .LBB7_160
	s_branch .LBB7_161
.LBB7_159:                              ;   in Loop: Header=BB7_140 Depth=1
	s_wait_xcnt 0x0
	s_add_nc_u64 s[12:13], s[0:1], 8
	s_mov_b32 s16, 0
.LBB7_160:                              ;   in Loop: Header=BB7_140 Depth=1
	global_load_b64 v[14:15], v9, s[0:1]
	s_add_co_i32 s16, s17, -8
.LBB7_161:                              ;   in Loop: Header=BB7_140 Depth=1
	s_delay_alu instid0(SALU_CYCLE_1)
	s_cmp_gt_u32 s16, 7
	s_cbranch_scc1 .LBB7_166
; %bb.162:                              ;   in Loop: Header=BB7_140 Depth=1
	v_mov_b64_e32 v[16:17], 0
	s_cmp_eq_u32 s16, 0
	s_cbranch_scc1 .LBB7_165
; %bb.163:                              ;   in Loop: Header=BB7_140 Depth=1
	s_wait_xcnt 0x0
	s_mov_b64 s[0:1], 0
	s_mov_b64 s[14:15], 0
.LBB7_164:                              ;   Parent Loop BB7_140 Depth=1
                                        ; =>  This Inner Loop Header: Depth=2
	s_wait_xcnt 0x0
	s_add_nc_u64 s[18:19], s[12:13], s[14:15]
	s_add_nc_u64 s[14:15], s[14:15], 1
	global_load_u8 v1, v9, s[18:19]
	s_cmp_lg_u32 s16, s14
	s_wait_loadcnt 0x0
	v_and_b32_e32 v8, 0xffff, v1
	s_delay_alu instid0(VALU_DEP_1) | instskip(SKIP_1) | instid1(VALU_DEP_1)
	v_lshlrev_b64_e32 v[18:19], s0, v[8:9]
	s_add_nc_u64 s[0:1], s[0:1], 8
	v_or_b32_e32 v16, v18, v16
	s_delay_alu instid0(VALU_DEP_2)
	v_or_b32_e32 v17, v19, v17
	s_cbranch_scc1 .LBB7_164
.LBB7_165:                              ;   in Loop: Header=BB7_140 Depth=1
	s_wait_xcnt 0x0
	s_mov_b64 s[0:1], s[12:13]
	s_mov_b32 s17, 0
	s_cbranch_execz .LBB7_167
	s_branch .LBB7_168
.LBB7_166:                              ;   in Loop: Header=BB7_140 Depth=1
	s_wait_xcnt 0x0
	s_add_nc_u64 s[0:1], s[12:13], 8
                                        ; implicit-def: $vgpr16_vgpr17
	s_mov_b32 s17, 0
.LBB7_167:                              ;   in Loop: Header=BB7_140 Depth=1
	global_load_b64 v[16:17], v9, s[12:13]
	s_add_co_i32 s17, s16, -8
.LBB7_168:                              ;   in Loop: Header=BB7_140 Depth=1
	s_delay_alu instid0(SALU_CYCLE_1)
	s_cmp_gt_u32 s17, 7
	s_cbranch_scc1 .LBB7_173
; %bb.169:                              ;   in Loop: Header=BB7_140 Depth=1
	v_mov_b64_e32 v[18:19], 0
	s_cmp_eq_u32 s17, 0
	s_cbranch_scc1 .LBB7_172
; %bb.170:                              ;   in Loop: Header=BB7_140 Depth=1
	s_wait_xcnt 0x0
	s_mov_b64 s[12:13], 0
	s_mov_b64 s[14:15], 0
.LBB7_171:                              ;   Parent Loop BB7_140 Depth=1
                                        ; =>  This Inner Loop Header: Depth=2
	s_wait_xcnt 0x0
	s_add_nc_u64 s[18:19], s[0:1], s[14:15]
	s_add_nc_u64 s[14:15], s[14:15], 1
	global_load_u8 v1, v9, s[18:19]
	s_cmp_lg_u32 s17, s14
	s_wait_loadcnt 0x0
	v_and_b32_e32 v8, 0xffff, v1
	s_delay_alu instid0(VALU_DEP_1) | instskip(SKIP_1) | instid1(VALU_DEP_1)
	v_lshlrev_b64_e32 v[20:21], s12, v[8:9]
	s_add_nc_u64 s[12:13], s[12:13], 8
	v_or_b32_e32 v18, v20, v18
	s_delay_alu instid0(VALU_DEP_2)
	v_or_b32_e32 v19, v21, v19
	s_cbranch_scc1 .LBB7_171
.LBB7_172:                              ;   in Loop: Header=BB7_140 Depth=1
	s_wait_xcnt 0x0
	s_mov_b64 s[12:13], s[0:1]
	s_mov_b32 s16, 0
	s_cbranch_execz .LBB7_174
	s_branch .LBB7_175
.LBB7_173:                              ;   in Loop: Header=BB7_140 Depth=1
	s_wait_xcnt 0x0
	s_add_nc_u64 s[12:13], s[0:1], 8
	s_mov_b32 s16, 0
.LBB7_174:                              ;   in Loop: Header=BB7_140 Depth=1
	global_load_b64 v[18:19], v9, s[0:1]
	s_add_co_i32 s16, s17, -8
.LBB7_175:                              ;   in Loop: Header=BB7_140 Depth=1
	s_delay_alu instid0(SALU_CYCLE_1)
	s_cmp_gt_u32 s16, 7
	s_cbranch_scc1 .LBB7_180
; %bb.176:                              ;   in Loop: Header=BB7_140 Depth=1
	v_mov_b64_e32 v[20:21], 0
	s_cmp_eq_u32 s16, 0
	s_cbranch_scc1 .LBB7_179
; %bb.177:                              ;   in Loop: Header=BB7_140 Depth=1
	s_wait_xcnt 0x0
	s_mov_b64 s[0:1], 0
	s_mov_b64 s[14:15], 0
.LBB7_178:                              ;   Parent Loop BB7_140 Depth=1
                                        ; =>  This Inner Loop Header: Depth=2
	s_wait_xcnt 0x0
	s_add_nc_u64 s[18:19], s[12:13], s[14:15]
	s_add_nc_u64 s[14:15], s[14:15], 1
	global_load_u8 v1, v9, s[18:19]
	s_cmp_lg_u32 s16, s14
	s_wait_loadcnt 0x0
	v_and_b32_e32 v8, 0xffff, v1
	s_delay_alu instid0(VALU_DEP_1) | instskip(SKIP_1) | instid1(VALU_DEP_1)
	v_lshlrev_b64_e32 v[22:23], s0, v[8:9]
	s_add_nc_u64 s[0:1], s[0:1], 8
	v_or_b32_e32 v20, v22, v20
	s_delay_alu instid0(VALU_DEP_2)
	v_or_b32_e32 v21, v23, v21
	s_cbranch_scc1 .LBB7_178
.LBB7_179:                              ;   in Loop: Header=BB7_140 Depth=1
	s_wait_xcnt 0x0
	s_mov_b64 s[0:1], s[12:13]
	s_mov_b32 s17, 0
	s_cbranch_execz .LBB7_181
	s_branch .LBB7_182
.LBB7_180:                              ;   in Loop: Header=BB7_140 Depth=1
	s_wait_xcnt 0x0
	s_add_nc_u64 s[0:1], s[12:13], 8
                                        ; implicit-def: $vgpr20_vgpr21
	s_mov_b32 s17, 0
.LBB7_181:                              ;   in Loop: Header=BB7_140 Depth=1
	global_load_b64 v[20:21], v9, s[12:13]
	s_add_co_i32 s17, s16, -8
.LBB7_182:                              ;   in Loop: Header=BB7_140 Depth=1
	s_delay_alu instid0(SALU_CYCLE_1)
	s_cmp_gt_u32 s17, 7
	s_cbranch_scc1 .LBB7_187
; %bb.183:                              ;   in Loop: Header=BB7_140 Depth=1
	v_mov_b64_e32 v[22:23], 0
	s_cmp_eq_u32 s17, 0
	s_cbranch_scc1 .LBB7_186
; %bb.184:                              ;   in Loop: Header=BB7_140 Depth=1
	s_wait_xcnt 0x0
	s_mov_b64 s[12:13], 0
	s_mov_b64 s[14:15], s[0:1]
.LBB7_185:                              ;   Parent Loop BB7_140 Depth=1
                                        ; =>  This Inner Loop Header: Depth=2
	global_load_u8 v1, v9, s[14:15]
	s_add_co_i32 s17, s17, -1
	s_wait_xcnt 0x0
	s_add_nc_u64 s[14:15], s[14:15], 1
	s_cmp_lg_u32 s17, 0
	s_wait_loadcnt 0x0
	v_and_b32_e32 v8, 0xffff, v1
	s_delay_alu instid0(VALU_DEP_1) | instskip(SKIP_1) | instid1(VALU_DEP_1)
	v_lshlrev_b64_e32 v[24:25], s12, v[8:9]
	s_add_nc_u64 s[12:13], s[12:13], 8
	v_or_b32_e32 v22, v24, v22
	s_delay_alu instid0(VALU_DEP_2)
	v_or_b32_e32 v23, v25, v23
	s_cbranch_scc1 .LBB7_185
.LBB7_186:                              ;   in Loop: Header=BB7_140 Depth=1
	s_wait_xcnt 0x0
	s_cbranch_execz .LBB7_188
	s_branch .LBB7_189
.LBB7_187:                              ;   in Loop: Header=BB7_140 Depth=1
	s_wait_xcnt 0x0
.LBB7_188:                              ;   in Loop: Header=BB7_140 Depth=1
	global_load_b64 v[22:23], v9, s[0:1]
.LBB7_189:                              ;   in Loop: Header=BB7_140 Depth=1
	s_wait_xcnt 0x0
	v_readfirstlane_b32 s0, v29
	v_mov_b64_e32 v[30:31], 0
	s_delay_alu instid0(VALU_DEP_2)
	v_cmp_eq_u32_e64 s0, s0, v29
	s_and_saveexec_b32 s1, s0
	s_cbranch_execz .LBB7_195
; %bb.190:                              ;   in Loop: Header=BB7_140 Depth=1
	global_load_b64 v[26:27], v9, s[2:3] offset:24 scope:SCOPE_SYS
	s_wait_loadcnt 0x0
	global_inv scope:SCOPE_SYS
	s_clause 0x1
	global_load_b64 v[24:25], v9, s[2:3] offset:40
	global_load_b64 v[30:31], v9, s[2:3]
	s_mov_b32 s12, exec_lo
	s_wait_loadcnt 0x1
	v_and_b32_e32 v24, v24, v26
	v_and_b32_e32 v25, v25, v27
	s_delay_alu instid0(VALU_DEP_1) | instskip(SKIP_1) | instid1(VALU_DEP_1)
	v_mul_u64_e32 v[24:25], 24, v[24:25]
	s_wait_loadcnt 0x0
	v_add_nc_u64_e32 v[24:25], v[30:31], v[24:25]
	global_load_b64 v[24:25], v[24:25], off scope:SCOPE_SYS
	s_wait_xcnt 0x0
	s_wait_loadcnt 0x0
	global_atomic_cmpswap_b64 v[30:31], v9, v[24:27], s[2:3] offset:24 th:TH_ATOMIC_RETURN scope:SCOPE_SYS
	s_wait_loadcnt 0x0
	global_inv scope:SCOPE_SYS
	s_wait_xcnt 0x0
	v_cmpx_ne_u64_e64 v[30:31], v[26:27]
	s_cbranch_execz .LBB7_194
; %bb.191:                              ;   in Loop: Header=BB7_140 Depth=1
	s_mov_b32 s13, 0
.LBB7_192:                              ;   Parent Loop BB7_140 Depth=1
                                        ; =>  This Inner Loop Header: Depth=2
	s_sleep 1
	s_clause 0x1
	global_load_b64 v[24:25], v9, s[2:3] offset:40
	global_load_b64 v[32:33], v9, s[2:3]
	v_mov_b64_e32 v[26:27], v[30:31]
	s_wait_loadcnt 0x1
	s_delay_alu instid0(VALU_DEP_1) | instskip(SKIP_1) | instid1(VALU_DEP_1)
	v_and_b32_e32 v1, v24, v26
	s_wait_loadcnt 0x0
	v_mad_nc_u64_u32 v[30:31], v1, 24, v[32:33]
	s_delay_alu instid0(VALU_DEP_3) | instskip(NEXT) | instid1(VALU_DEP_1)
	v_and_b32_e32 v1, v25, v27
	v_mad_u32 v31, v1, 24, v31
	global_load_b64 v[24:25], v[30:31], off scope:SCOPE_SYS
	s_wait_xcnt 0x0
	s_wait_loadcnt 0x0
	global_atomic_cmpswap_b64 v[30:31], v9, v[24:27], s[2:3] offset:24 th:TH_ATOMIC_RETURN scope:SCOPE_SYS
	s_wait_loadcnt 0x0
	global_inv scope:SCOPE_SYS
	v_cmp_eq_u64_e32 vcc_lo, v[30:31], v[26:27]
	s_or_b32 s13, vcc_lo, s13
	s_wait_xcnt 0x0
	s_and_not1_b32 exec_lo, exec_lo, s13
	s_cbranch_execnz .LBB7_192
; %bb.193:                              ;   in Loop: Header=BB7_140 Depth=1
	s_or_b32 exec_lo, exec_lo, s13
.LBB7_194:                              ;   in Loop: Header=BB7_140 Depth=1
	s_delay_alu instid0(SALU_CYCLE_1)
	s_or_b32 exec_lo, exec_lo, s12
.LBB7_195:                              ;   in Loop: Header=BB7_140 Depth=1
	s_delay_alu instid0(SALU_CYCLE_1)
	s_or_b32 exec_lo, exec_lo, s1
	s_clause 0x1
	global_load_b64 v[32:33], v9, s[2:3] offset:40
	global_load_b128 v[24:27], v9, s[2:3]
	v_readfirstlane_b32 s12, v30
	v_readfirstlane_b32 s13, v31
	s_mov_b32 s1, exec_lo
	s_wait_loadcnt 0x1
	v_and_b32_e32 v32, s12, v32
	v_and_b32_e32 v33, s13, v33
	s_delay_alu instid0(VALU_DEP_1) | instskip(SKIP_1) | instid1(VALU_DEP_1)
	v_mul_u64_e32 v[30:31], 24, v[32:33]
	s_wait_loadcnt 0x0
	v_add_nc_u64_e32 v[30:31], v[24:25], v[30:31]
	s_wait_xcnt 0x0
	s_and_saveexec_b32 s14, s0
	s_cbranch_execz .LBB7_197
; %bb.196:                              ;   in Loop: Header=BB7_140 Depth=1
	v_mov_b32_e32 v8, s1
	global_store_b128 v[30:31], v[8:11], off offset:8
.LBB7_197:                              ;   in Loop: Header=BB7_140 Depth=1
	s_wait_xcnt 0x0
	s_or_b32 exec_lo, exec_lo, s14
	v_cmp_lt_u64_e64 vcc_lo, s[6:7], 57
	v_lshlrev_b64_e32 v[32:33], 12, v[32:33]
	v_and_b32_e32 v4, 0xffffff1f, v4
	s_lshl_b32 s1, s10, 2
	s_delay_alu instid0(SALU_CYCLE_1) | instskip(SKIP_1) | instid1(VALU_DEP_3)
	s_add_co_i32 s1, s1, 28
	v_cndmask_b32_e32 v1, 0, v28, vcc_lo
	v_add_nc_u64_e32 v[26:27], v[26:27], v[32:33]
	s_delay_alu instid0(VALU_DEP_2) | instskip(NEXT) | instid1(VALU_DEP_2)
	v_or_b32_e32 v1, v4, v1
	v_readfirstlane_b32 s14, v26
	s_delay_alu instid0(VALU_DEP_3) | instskip(NEXT) | instid1(VALU_DEP_3)
	v_readfirstlane_b32 s15, v27
	v_and_or_b32 v4, 0x1e0, s1, v1
	s_clause 0x3
	global_store_b128 v0, v[4:7], s[14:15]
	global_store_b128 v0, v[12:15], s[14:15] offset:16
	global_store_b128 v0, v[16:19], s[14:15] offset:32
	;; [unrolled: 1-line block ×3, first 2 shown]
	s_wait_xcnt 0x0
	s_and_saveexec_b32 s1, s0
	s_cbranch_execz .LBB7_205
; %bb.198:                              ;   in Loop: Header=BB7_140 Depth=1
	s_clause 0x1
	global_load_b64 v[16:17], v9, s[2:3] offset:32 scope:SCOPE_SYS
	global_load_b64 v[4:5], v9, s[2:3] offset:40
	s_mov_b32 s14, exec_lo
	v_dual_mov_b32 v14, s12 :: v_dual_mov_b32 v15, s13
	s_wait_loadcnt 0x0
	v_and_b32_e32 v5, s13, v5
	v_and_b32_e32 v4, s12, v4
	s_delay_alu instid0(VALU_DEP_1) | instskip(NEXT) | instid1(VALU_DEP_1)
	v_mul_u64_e32 v[4:5], 24, v[4:5]
	v_add_nc_u64_e32 v[12:13], v[24:25], v[4:5]
	global_store_b64 v[12:13], v[16:17], off
	global_wb scope:SCOPE_SYS
	s_wait_storecnt 0x0
	s_wait_xcnt 0x0
	global_atomic_cmpswap_b64 v[6:7], v9, v[14:17], s[2:3] offset:32 th:TH_ATOMIC_RETURN scope:SCOPE_SYS
	s_wait_loadcnt 0x0
	v_cmpx_ne_u64_e64 v[6:7], v[16:17]
	s_cbranch_execz .LBB7_201
; %bb.199:                              ;   in Loop: Header=BB7_140 Depth=1
	s_mov_b32 s15, 0
.LBB7_200:                              ;   Parent Loop BB7_140 Depth=1
                                        ; =>  This Inner Loop Header: Depth=2
	v_dual_mov_b32 v4, s12 :: v_dual_mov_b32 v5, s13
	s_sleep 1
	global_store_b64 v[12:13], v[6:7], off
	global_wb scope:SCOPE_SYS
	s_wait_storecnt 0x0
	s_wait_xcnt 0x0
	global_atomic_cmpswap_b64 v[4:5], v9, v[4:7], s[2:3] offset:32 th:TH_ATOMIC_RETURN scope:SCOPE_SYS
	s_wait_loadcnt 0x0
	v_cmp_eq_u64_e32 vcc_lo, v[4:5], v[6:7]
	v_mov_b64_e32 v[6:7], v[4:5]
	s_or_b32 s15, vcc_lo, s15
	s_delay_alu instid0(SALU_CYCLE_1)
	s_and_not1_b32 exec_lo, exec_lo, s15
	s_cbranch_execnz .LBB7_200
.LBB7_201:                              ;   in Loop: Header=BB7_140 Depth=1
	s_or_b32 exec_lo, exec_lo, s14
	global_load_b64 v[4:5], v9, s[2:3] offset:16
	s_mov_b32 s15, exec_lo
	s_mov_b32 s14, exec_lo
	v_mbcnt_lo_u32_b32 v1, s15, 0
	s_wait_xcnt 0x0
	s_delay_alu instid0(VALU_DEP_1)
	v_cmpx_eq_u32_e32 0, v1
	s_cbranch_execz .LBB7_203
; %bb.202:                              ;   in Loop: Header=BB7_140 Depth=1
	s_bcnt1_i32_b32 s15, s15
	s_delay_alu instid0(SALU_CYCLE_1)
	v_mov_b32_e32 v8, s15
	global_wb scope:SCOPE_SYS
	s_wait_loadcnt 0x0
	s_wait_storecnt 0x0
	global_atomic_add_u64 v[4:5], v[8:9], off offset:8 scope:SCOPE_SYS
.LBB7_203:                              ;   in Loop: Header=BB7_140 Depth=1
	s_wait_xcnt 0x0
	s_or_b32 exec_lo, exec_lo, s14
	s_wait_loadcnt 0x0
	global_load_b64 v[6:7], v[4:5], off offset:16
	s_wait_loadcnt 0x0
	v_cmp_eq_u64_e32 vcc_lo, 0, v[6:7]
	s_cbranch_vccnz .LBB7_205
; %bb.204:                              ;   in Loop: Header=BB7_140 Depth=1
	global_load_b32 v8, v[4:5], off offset:24
	s_wait_loadcnt 0x0
	v_readfirstlane_b32 s14, v8
	global_wb scope:SCOPE_SYS
	s_wait_storecnt 0x0
	s_wait_xcnt 0x0
	global_store_b64 v[6:7], v[8:9], off scope:SCOPE_SYS
	s_and_b32 m0, s14, 0xffffff
	s_sendmsg sendmsg(MSG_INTERRUPT)
.LBB7_205:                              ;   in Loop: Header=BB7_140 Depth=1
	s_wait_xcnt 0x0
	s_or_b32 exec_lo, exec_lo, s1
	v_mov_b32_e32 v1, v9
	s_delay_alu instid0(VALU_DEP_1)
	v_add_nc_u64_e32 v[4:5], v[26:27], v[0:1]
	s_branch .LBB7_209
.LBB7_206:                              ;   in Loop: Header=BB7_209 Depth=2
	s_wait_xcnt 0x0
	s_or_b32 exec_lo, exec_lo, s1
	s_delay_alu instid0(VALU_DEP_1)
	v_readfirstlane_b32 s1, v1
	s_cmp_eq_u32 s1, 0
	s_cbranch_scc1 .LBB7_208
; %bb.207:                              ;   in Loop: Header=BB7_209 Depth=2
	s_sleep 1
	s_cbranch_execnz .LBB7_209
	s_branch .LBB7_211
.LBB7_208:                              ;   in Loop: Header=BB7_140 Depth=1
	s_branch .LBB7_211
.LBB7_209:                              ;   Parent Loop BB7_140 Depth=1
                                        ; =>  This Inner Loop Header: Depth=2
	v_mov_b32_e32 v1, 1
	s_and_saveexec_b32 s1, s0
	s_cbranch_execz .LBB7_206
; %bb.210:                              ;   in Loop: Header=BB7_209 Depth=2
	global_load_b32 v1, v[30:31], off offset:20 scope:SCOPE_SYS
	s_wait_loadcnt 0x0
	global_inv scope:SCOPE_SYS
	v_and_b32_e32 v1, 1, v1
	s_branch .LBB7_206
.LBB7_211:                              ;   in Loop: Header=BB7_140 Depth=1
	global_load_b64 v[4:5], v[4:5], off
	s_wait_xcnt 0x0
	s_and_saveexec_b32 s14, s0
	s_cbranch_execz .LBB7_139
; %bb.212:                              ;   in Loop: Header=BB7_140 Depth=1
	s_clause 0x2
	global_load_b64 v[6:7], v9, s[2:3] offset:40
	global_load_b64 v[16:17], v9, s[2:3] offset:24 scope:SCOPE_SYS
	global_load_b64 v[12:13], v9, s[2:3]
	s_wait_loadcnt 0x2
	v_readfirstlane_b32 s16, v6
	v_readfirstlane_b32 s17, v7
	s_add_nc_u64 s[0:1], s[16:17], 1
	s_delay_alu instid0(SALU_CYCLE_1) | instskip(NEXT) | instid1(SALU_CYCLE_1)
	s_add_nc_u64 s[12:13], s[0:1], s[12:13]
	s_cmp_eq_u64 s[12:13], 0
	s_cselect_b32 s1, s1, s13
	s_cselect_b32 s0, s0, s12
	s_delay_alu instid0(SALU_CYCLE_1) | instskip(SKIP_1) | instid1(SALU_CYCLE_1)
	v_dual_mov_b32 v15, s1 :: v_dual_mov_b32 v14, s0
	s_and_b64 s[12:13], s[0:1], s[16:17]
	s_mul_u64 s[12:13], s[12:13], 24
	s_wait_loadcnt 0x0
	v_add_nc_u64_e32 v[6:7], s[12:13], v[12:13]
	global_store_b64 v[6:7], v[16:17], off
	global_wb scope:SCOPE_SYS
	s_wait_storecnt 0x0
	s_wait_xcnt 0x0
	global_atomic_cmpswap_b64 v[14:15], v9, v[14:17], s[2:3] offset:24 th:TH_ATOMIC_RETURN scope:SCOPE_SYS
	s_wait_loadcnt 0x0
	v_cmp_ne_u64_e32 vcc_lo, v[14:15], v[16:17]
	s_and_b32 exec_lo, exec_lo, vcc_lo
	s_cbranch_execz .LBB7_139
; %bb.213:                              ;   in Loop: Header=BB7_140 Depth=1
	s_mov_b32 s12, 0
.LBB7_214:                              ;   Parent Loop BB7_140 Depth=1
                                        ; =>  This Inner Loop Header: Depth=2
	v_dual_mov_b32 v12, s0 :: v_dual_mov_b32 v13, s1
	s_sleep 1
	global_store_b64 v[6:7], v[14:15], off
	global_wb scope:SCOPE_SYS
	s_wait_storecnt 0x0
	s_wait_xcnt 0x0
	global_atomic_cmpswap_b64 v[12:13], v9, v[12:15], s[2:3] offset:24 th:TH_ATOMIC_RETURN scope:SCOPE_SYS
	s_wait_loadcnt 0x0
	v_cmp_eq_u64_e32 vcc_lo, v[12:13], v[14:15]
	v_mov_b64_e32 v[14:15], v[12:13]
	s_or_b32 s12, vcc_lo, s12
	s_delay_alu instid0(SALU_CYCLE_1)
	s_and_not1_b32 exec_lo, exec_lo, s12
	s_cbranch_execnz .LBB7_214
	s_branch .LBB7_139
.LBB7_215:
                                        ; implicit-def: $vgpr4_vgpr5
	s_cbranch_execnz .LBB7_217
	s_branch .LBB7_244
.LBB7_216:
	s_branch .LBB7_244
.LBB7_217:
	v_readfirstlane_b32 s0, v29
	s_wait_loadcnt 0x0
	v_mov_b64_e32 v[4:5], 0
	s_delay_alu instid0(VALU_DEP_2)
	v_cmp_eq_u32_e64 s0, s0, v29
	s_and_saveexec_b32 s1, s0
	s_cbranch_execz .LBB7_223
; %bb.218:
	v_mov_b32_e32 v1, 0
	s_mov_b32 s4, exec_lo
	global_load_b64 v[6:7], v1, s[2:3] offset:24 scope:SCOPE_SYS
	s_wait_loadcnt 0x0
	global_inv scope:SCOPE_SYS
	s_clause 0x1
	global_load_b64 v[4:5], v1, s[2:3] offset:40
	global_load_b64 v[8:9], v1, s[2:3]
	s_wait_loadcnt 0x1
	v_and_b32_e32 v4, v4, v6
	v_and_b32_e32 v5, v5, v7
	s_delay_alu instid0(VALU_DEP_1) | instskip(SKIP_1) | instid1(VALU_DEP_1)
	v_mul_u64_e32 v[4:5], 24, v[4:5]
	s_wait_loadcnt 0x0
	v_add_nc_u64_e32 v[4:5], v[8:9], v[4:5]
	global_load_b64 v[4:5], v[4:5], off scope:SCOPE_SYS
	s_wait_xcnt 0x0
	s_wait_loadcnt 0x0
	global_atomic_cmpswap_b64 v[4:5], v1, v[4:7], s[2:3] offset:24 th:TH_ATOMIC_RETURN scope:SCOPE_SYS
	s_wait_loadcnt 0x0
	global_inv scope:SCOPE_SYS
	s_wait_xcnt 0x0
	v_cmpx_ne_u64_e64 v[4:5], v[6:7]
	s_cbranch_execz .LBB7_222
; %bb.219:
	s_mov_b32 s5, 0
.LBB7_220:                              ; =>This Inner Loop Header: Depth=1
	s_sleep 1
	s_clause 0x1
	global_load_b64 v[8:9], v1, s[2:3] offset:40
	global_load_b64 v[10:11], v1, s[2:3]
	v_mov_b64_e32 v[6:7], v[4:5]
	s_wait_loadcnt 0x1
	s_delay_alu instid0(VALU_DEP_1) | instskip(NEXT) | instid1(VALU_DEP_2)
	v_and_b32_e32 v4, v8, v6
	v_and_b32_e32 v8, v9, v7
	s_wait_loadcnt 0x0
	s_delay_alu instid0(VALU_DEP_2) | instskip(NEXT) | instid1(VALU_DEP_1)
	v_mad_nc_u64_u32 v[4:5], v4, 24, v[10:11]
	v_mad_u32 v5, v8, 24, v5
	global_load_b64 v[4:5], v[4:5], off scope:SCOPE_SYS
	s_wait_xcnt 0x0
	s_wait_loadcnt 0x0
	global_atomic_cmpswap_b64 v[4:5], v1, v[4:7], s[2:3] offset:24 th:TH_ATOMIC_RETURN scope:SCOPE_SYS
	s_wait_loadcnt 0x0
	global_inv scope:SCOPE_SYS
	v_cmp_eq_u64_e32 vcc_lo, v[4:5], v[6:7]
	s_or_b32 s5, vcc_lo, s5
	s_wait_xcnt 0x0
	s_and_not1_b32 exec_lo, exec_lo, s5
	s_cbranch_execnz .LBB7_220
; %bb.221:
	s_or_b32 exec_lo, exec_lo, s5
.LBB7_222:
	s_delay_alu instid0(SALU_CYCLE_1)
	s_or_b32 exec_lo, exec_lo, s4
.LBB7_223:
	s_delay_alu instid0(SALU_CYCLE_1)
	s_or_b32 exec_lo, exec_lo, s1
	v_readfirstlane_b32 s4, v4
	v_mov_b32_e32 v1, 0
	v_readfirstlane_b32 s5, v5
	s_mov_b32 s1, exec_lo
	s_clause 0x1
	global_load_b64 v[10:11], v1, s[2:3] offset:40
	global_load_b128 v[6:9], v1, s[2:3]
	s_wait_loadcnt 0x1
	v_and_b32_e32 v4, s4, v10
	v_and_b32_e32 v5, s5, v11
	s_delay_alu instid0(VALU_DEP_1) | instskip(SKIP_1) | instid1(VALU_DEP_1)
	v_mul_u64_e32 v[10:11], 24, v[4:5]
	s_wait_loadcnt 0x0
	v_add_nc_u64_e32 v[10:11], v[6:7], v[10:11]
	s_wait_xcnt 0x0
	s_and_saveexec_b32 s6, s0
	s_cbranch_execz .LBB7_225
; %bb.224:
	v_mov_b64_e32 v[14:15], 0x100000002
	v_dual_mov_b32 v12, s1 :: v_dual_mov_b32 v13, v1
	global_store_b128 v[10:11], v[12:15], off offset:8
.LBB7_225:
	s_wait_xcnt 0x0
	s_or_b32 exec_lo, exec_lo, s6
	v_lshlrev_b64_e32 v[4:5], 12, v[4:5]
	s_mov_b32 s12, 0
	v_and_or_b32 v2, 0xffffff1f, v2, 32
	s_mov_b32 s13, s12
	s_mov_b32 s14, s12
	;; [unrolled: 1-line block ×3, first 2 shown]
	v_mov_b64_e32 v[12:13], s[12:13]
	v_add_nc_u64_e32 v[8:9], v[8:9], v[4:5]
	v_mov_b64_e32 v[14:15], s[14:15]
	v_dual_mov_b32 v4, v1 :: v_dual_mov_b32 v5, v1
	s_delay_alu instid0(VALU_DEP_3) | instskip(NEXT) | instid1(VALU_DEP_4)
	v_readfirstlane_b32 s6, v8
	v_readfirstlane_b32 s7, v9
	s_clause 0x3
	global_store_b128 v0, v[2:5], s[6:7]
	global_store_b128 v0, v[12:15], s[6:7] offset:16
	global_store_b128 v0, v[12:15], s[6:7] offset:32
	;; [unrolled: 1-line block ×3, first 2 shown]
	s_wait_xcnt 0x0
	s_and_saveexec_b32 s1, s0
	s_cbranch_execz .LBB7_233
; %bb.226:
	v_dual_mov_b32 v12, 0 :: v_dual_mov_b32 v15, s5
	s_mov_b32 s6, exec_lo
	s_clause 0x1
	global_load_b64 v[16:17], v12, s[2:3] offset:32 scope:SCOPE_SYS
	global_load_b64 v[2:3], v12, s[2:3] offset:40
	s_wait_loadcnt 0x0
	v_dual_mov_b32 v14, s4 :: v_dual_bitop2_b32 v3, s5, v3 bitop3:0x40
	v_and_b32_e32 v2, s4, v2
	s_delay_alu instid0(VALU_DEP_1) | instskip(NEXT) | instid1(VALU_DEP_1)
	v_mul_u64_e32 v[2:3], 24, v[2:3]
	v_add_nc_u64_e32 v[6:7], v[6:7], v[2:3]
	global_store_b64 v[6:7], v[16:17], off
	global_wb scope:SCOPE_SYS
	s_wait_storecnt 0x0
	s_wait_xcnt 0x0
	global_atomic_cmpswap_b64 v[4:5], v12, v[14:17], s[2:3] offset:32 th:TH_ATOMIC_RETURN scope:SCOPE_SYS
	s_wait_loadcnt 0x0
	v_cmpx_ne_u64_e64 v[4:5], v[16:17]
	s_cbranch_execz .LBB7_229
; %bb.227:
	s_mov_b32 s7, 0
.LBB7_228:                              ; =>This Inner Loop Header: Depth=1
	v_dual_mov_b32 v2, s4 :: v_dual_mov_b32 v3, s5
	s_sleep 1
	global_store_b64 v[6:7], v[4:5], off
	global_wb scope:SCOPE_SYS
	s_wait_storecnt 0x0
	s_wait_xcnt 0x0
	global_atomic_cmpswap_b64 v[2:3], v12, v[2:5], s[2:3] offset:32 th:TH_ATOMIC_RETURN scope:SCOPE_SYS
	s_wait_loadcnt 0x0
	v_cmp_eq_u64_e32 vcc_lo, v[2:3], v[4:5]
	v_mov_b64_e32 v[4:5], v[2:3]
	s_or_b32 s7, vcc_lo, s7
	s_delay_alu instid0(SALU_CYCLE_1)
	s_and_not1_b32 exec_lo, exec_lo, s7
	s_cbranch_execnz .LBB7_228
.LBB7_229:
	s_or_b32 exec_lo, exec_lo, s6
	v_mov_b32_e32 v5, 0
	s_mov_b32 s7, exec_lo
	s_mov_b32 s6, exec_lo
	v_mbcnt_lo_u32_b32 v4, s7, 0
	global_load_b64 v[2:3], v5, s[2:3] offset:16
	s_wait_xcnt 0x0
	v_cmpx_eq_u32_e32 0, v4
	s_cbranch_execz .LBB7_231
; %bb.230:
	s_bcnt1_i32_b32 s7, s7
	s_delay_alu instid0(SALU_CYCLE_1)
	v_mov_b32_e32 v4, s7
	global_wb scope:SCOPE_SYS
	s_wait_loadcnt 0x0
	s_wait_storecnt 0x0
	global_atomic_add_u64 v[2:3], v[4:5], off offset:8 scope:SCOPE_SYS
.LBB7_231:
	s_wait_xcnt 0x0
	s_or_b32 exec_lo, exec_lo, s6
	s_wait_loadcnt 0x0
	global_load_b64 v[4:5], v[2:3], off offset:16
	s_wait_loadcnt 0x0
	v_cmp_eq_u64_e32 vcc_lo, 0, v[4:5]
	s_cbranch_vccnz .LBB7_233
; %bb.232:
	global_load_b32 v2, v[2:3], off offset:24
	s_wait_xcnt 0x0
	v_mov_b32_e32 v3, 0
	s_wait_loadcnt 0x0
	v_readfirstlane_b32 s6, v2
	global_wb scope:SCOPE_SYS
	s_wait_storecnt 0x0
	global_store_b64 v[4:5], v[2:3], off scope:SCOPE_SYS
	s_and_b32 m0, s6, 0xffffff
	s_sendmsg sendmsg(MSG_INTERRUPT)
.LBB7_233:
	s_wait_xcnt 0x0
	s_or_b32 exec_lo, exec_lo, s1
	v_add_nc_u64_e32 v[2:3], v[8:9], v[0:1]
	s_branch .LBB7_237
.LBB7_234:                              ;   in Loop: Header=BB7_237 Depth=1
	s_wait_xcnt 0x0
	s_or_b32 exec_lo, exec_lo, s1
	s_delay_alu instid0(VALU_DEP_1)
	v_readfirstlane_b32 s1, v1
	s_cmp_eq_u32 s1, 0
	s_cbranch_scc1 .LBB7_236
; %bb.235:                              ;   in Loop: Header=BB7_237 Depth=1
	s_sleep 1
	s_cbranch_execnz .LBB7_237
	s_branch .LBB7_239
.LBB7_236:
	s_branch .LBB7_239
.LBB7_237:                              ; =>This Inner Loop Header: Depth=1
	v_mov_b32_e32 v1, 1
	s_and_saveexec_b32 s1, s0
	s_cbranch_execz .LBB7_234
; %bb.238:                              ;   in Loop: Header=BB7_237 Depth=1
	global_load_b32 v1, v[10:11], off offset:20 scope:SCOPE_SYS
	s_wait_loadcnt 0x0
	global_inv scope:SCOPE_SYS
	v_and_b32_e32 v1, 1, v1
	s_branch .LBB7_234
.LBB7_239:
	global_load_b64 v[4:5], v[2:3], off
	s_wait_xcnt 0x0
	s_and_saveexec_b32 s6, s0
	s_cbranch_execz .LBB7_243
; %bb.240:
	v_mov_b32_e32 v1, 0
	s_clause 0x2
	global_load_b64 v[2:3], v1, s[2:3] offset:40
	global_load_b64 v[10:11], v1, s[2:3] offset:24 scope:SCOPE_SYS
	global_load_b64 v[6:7], v1, s[2:3]
	s_wait_loadcnt 0x2
	v_readfirstlane_b32 s10, v2
	v_readfirstlane_b32 s11, v3
	s_add_nc_u64 s[0:1], s[10:11], 1
	s_delay_alu instid0(SALU_CYCLE_1) | instskip(NEXT) | instid1(SALU_CYCLE_1)
	s_add_nc_u64 s[4:5], s[0:1], s[4:5]
	s_cmp_eq_u64 s[4:5], 0
	s_cselect_b32 s1, s1, s5
	s_cselect_b32 s0, s0, s4
	v_mov_b32_e32 v9, s1
	s_and_b64 s[4:5], s[0:1], s[10:11]
	v_mov_b32_e32 v8, s0
	s_mul_u64 s[4:5], s[4:5], 24
	s_wait_loadcnt 0x0
	v_add_nc_u64_e32 v[2:3], s[4:5], v[6:7]
	global_store_b64 v[2:3], v[10:11], off
	global_wb scope:SCOPE_SYS
	s_wait_storecnt 0x0
	s_wait_xcnt 0x0
	global_atomic_cmpswap_b64 v[8:9], v1, v[8:11], s[2:3] offset:24 th:TH_ATOMIC_RETURN scope:SCOPE_SYS
	s_wait_loadcnt 0x0
	v_cmp_ne_u64_e32 vcc_lo, v[8:9], v[10:11]
	s_and_b32 exec_lo, exec_lo, vcc_lo
	s_cbranch_execz .LBB7_243
; %bb.241:
	s_mov_b32 s4, 0
.LBB7_242:                              ; =>This Inner Loop Header: Depth=1
	v_dual_mov_b32 v6, s0 :: v_dual_mov_b32 v7, s1
	s_sleep 1
	global_store_b64 v[2:3], v[8:9], off
	global_wb scope:SCOPE_SYS
	s_wait_storecnt 0x0
	s_wait_xcnt 0x0
	global_atomic_cmpswap_b64 v[6:7], v1, v[6:9], s[2:3] offset:24 th:TH_ATOMIC_RETURN scope:SCOPE_SYS
	s_wait_loadcnt 0x0
	v_cmp_eq_u64_e32 vcc_lo, v[6:7], v[8:9]
	v_mov_b64_e32 v[8:9], v[6:7]
	s_or_b32 s4, vcc_lo, s4
	s_delay_alu instid0(SALU_CYCLE_1)
	s_and_not1_b32 exec_lo, exec_lo, s4
	s_cbranch_execnz .LBB7_242
.LBB7_243:
	s_or_b32 exec_lo, exec_lo, s6
.LBB7_244:
	v_readfirstlane_b32 s0, v29
	s_wait_loadcnt 0x0
	v_mov_b64_e32 v[2:3], 0
	s_delay_alu instid0(VALU_DEP_2)
	v_cmp_eq_u32_e64 s0, s0, v29
	s_and_saveexec_b32 s1, s0
	s_cbranch_execz .LBB7_250
; %bb.245:
	v_mov_b32_e32 v1, 0
	s_mov_b32 s4, exec_lo
	global_load_b64 v[8:9], v1, s[2:3] offset:24 scope:SCOPE_SYS
	s_wait_loadcnt 0x0
	global_inv scope:SCOPE_SYS
	s_clause 0x1
	global_load_b64 v[2:3], v1, s[2:3] offset:40
	global_load_b64 v[6:7], v1, s[2:3]
	s_wait_loadcnt 0x1
	v_and_b32_e32 v2, v2, v8
	v_and_b32_e32 v3, v3, v9
	s_delay_alu instid0(VALU_DEP_1) | instskip(SKIP_1) | instid1(VALU_DEP_1)
	v_mul_u64_e32 v[2:3], 24, v[2:3]
	s_wait_loadcnt 0x0
	v_add_nc_u64_e32 v[2:3], v[6:7], v[2:3]
	global_load_b64 v[6:7], v[2:3], off scope:SCOPE_SYS
	s_wait_xcnt 0x0
	s_wait_loadcnt 0x0
	global_atomic_cmpswap_b64 v[2:3], v1, v[6:9], s[2:3] offset:24 th:TH_ATOMIC_RETURN scope:SCOPE_SYS
	s_wait_loadcnt 0x0
	global_inv scope:SCOPE_SYS
	s_wait_xcnt 0x0
	v_cmpx_ne_u64_e64 v[2:3], v[8:9]
	s_cbranch_execz .LBB7_249
; %bb.246:
	s_mov_b32 s5, 0
.LBB7_247:                              ; =>This Inner Loop Header: Depth=1
	s_sleep 1
	s_clause 0x1
	global_load_b64 v[6:7], v1, s[2:3] offset:40
	global_load_b64 v[10:11], v1, s[2:3]
	v_mov_b64_e32 v[8:9], v[2:3]
	s_wait_loadcnt 0x1
	s_delay_alu instid0(VALU_DEP_1) | instskip(NEXT) | instid1(VALU_DEP_2)
	v_and_b32_e32 v2, v6, v8
	v_and_b32_e32 v6, v7, v9
	s_wait_loadcnt 0x0
	s_delay_alu instid0(VALU_DEP_2) | instskip(NEXT) | instid1(VALU_DEP_1)
	v_mad_nc_u64_u32 v[2:3], v2, 24, v[10:11]
	v_mad_u32 v3, v6, 24, v3
	global_load_b64 v[6:7], v[2:3], off scope:SCOPE_SYS
	s_wait_xcnt 0x0
	s_wait_loadcnt 0x0
	global_atomic_cmpswap_b64 v[2:3], v1, v[6:9], s[2:3] offset:24 th:TH_ATOMIC_RETURN scope:SCOPE_SYS
	s_wait_loadcnt 0x0
	global_inv scope:SCOPE_SYS
	v_cmp_eq_u64_e32 vcc_lo, v[2:3], v[8:9]
	s_or_b32 s5, vcc_lo, s5
	s_wait_xcnt 0x0
	s_and_not1_b32 exec_lo, exec_lo, s5
	s_cbranch_execnz .LBB7_247
; %bb.248:
	s_or_b32 exec_lo, exec_lo, s5
.LBB7_249:
	s_delay_alu instid0(SALU_CYCLE_1)
	s_or_b32 exec_lo, exec_lo, s4
.LBB7_250:
	s_delay_alu instid0(SALU_CYCLE_1)
	s_or_b32 exec_lo, exec_lo, s1
	v_readfirstlane_b32 s4, v2
	v_mov_b32_e32 v1, 0
	v_readfirstlane_b32 s5, v3
	s_mov_b32 s1, exec_lo
	s_clause 0x1
	global_load_b64 v[6:7], v1, s[2:3] offset:40
	global_load_b128 v[8:11], v1, s[2:3]
	s_wait_loadcnt 0x1
	v_and_b32_e32 v2, s4, v6
	v_and_b32_e32 v3, s5, v7
	s_delay_alu instid0(VALU_DEP_1) | instskip(SKIP_1) | instid1(VALU_DEP_1)
	v_mul_u64_e32 v[6:7], 24, v[2:3]
	s_wait_loadcnt 0x0
	v_add_nc_u64_e32 v[12:13], v[8:9], v[6:7]
	s_wait_xcnt 0x0
	s_and_saveexec_b32 s6, s0
	s_cbranch_execz .LBB7_252
; %bb.251:
	v_mov_b64_e32 v[16:17], 0x100000002
	v_dual_mov_b32 v14, s1 :: v_dual_mov_b32 v15, v1
	global_store_b128 v[12:13], v[14:17], off offset:8
.LBB7_252:
	s_wait_xcnt 0x0
	s_or_b32 exec_lo, exec_lo, s6
	v_lshlrev_b64_e32 v[2:3], 12, v[2:3]
	s_mov_b32 s12, 0
	v_and_or_b32 v4, 0xffffff1f, v4, 32
	s_mov_b32 s14, s12
	s_mov_b32 s15, s12
	;; [unrolled: 1-line block ×3, first 2 shown]
	v_mov_b64_e32 v[16:17], s[14:15]
	v_add_nc_u64_e32 v[10:11], v[10:11], v[2:3]
	v_mov_b64_e32 v[14:15], s[12:13]
	v_dual_mov_b32 v6, 0x41 :: v_dual_mov_b32 v7, v1
	s_delay_alu instid0(VALU_DEP_3) | instskip(NEXT) | instid1(VALU_DEP_4)
	v_readfirstlane_b32 s6, v10
	v_readfirstlane_b32 s7, v11
	s_clause 0x3
	global_store_b128 v0, v[4:7], s[6:7]
	global_store_b128 v0, v[14:17], s[6:7] offset:16
	global_store_b128 v0, v[14:17], s[6:7] offset:32
	;; [unrolled: 1-line block ×3, first 2 shown]
	s_wait_xcnt 0x0
	s_and_saveexec_b32 s1, s0
	s_cbranch_execz .LBB7_260
; %bb.253:
	v_dual_mov_b32 v14, 0 :: v_dual_mov_b32 v17, s5
	s_mov_b32 s6, exec_lo
	s_clause 0x1
	global_load_b64 v[18:19], v14, s[2:3] offset:32 scope:SCOPE_SYS
	global_load_b64 v[2:3], v14, s[2:3] offset:40
	s_wait_loadcnt 0x0
	v_dual_mov_b32 v16, s4 :: v_dual_bitop2_b32 v3, s5, v3 bitop3:0x40
	v_and_b32_e32 v2, s4, v2
	s_delay_alu instid0(VALU_DEP_1) | instskip(NEXT) | instid1(VALU_DEP_1)
	v_mul_u64_e32 v[2:3], 24, v[2:3]
	v_add_nc_u64_e32 v[6:7], v[8:9], v[2:3]
	global_store_b64 v[6:7], v[18:19], off
	global_wb scope:SCOPE_SYS
	s_wait_storecnt 0x0
	s_wait_xcnt 0x0
	global_atomic_cmpswap_b64 v[4:5], v14, v[16:19], s[2:3] offset:32 th:TH_ATOMIC_RETURN scope:SCOPE_SYS
	s_wait_loadcnt 0x0
	v_cmpx_ne_u64_e64 v[4:5], v[18:19]
	s_cbranch_execz .LBB7_256
; %bb.254:
	s_mov_b32 s7, 0
.LBB7_255:                              ; =>This Inner Loop Header: Depth=1
	v_dual_mov_b32 v2, s4 :: v_dual_mov_b32 v3, s5
	s_sleep 1
	global_store_b64 v[6:7], v[4:5], off
	global_wb scope:SCOPE_SYS
	s_wait_storecnt 0x0
	s_wait_xcnt 0x0
	global_atomic_cmpswap_b64 v[2:3], v14, v[2:5], s[2:3] offset:32 th:TH_ATOMIC_RETURN scope:SCOPE_SYS
	s_wait_loadcnt 0x0
	v_cmp_eq_u64_e32 vcc_lo, v[2:3], v[4:5]
	v_mov_b64_e32 v[4:5], v[2:3]
	s_or_b32 s7, vcc_lo, s7
	s_delay_alu instid0(SALU_CYCLE_1)
	s_and_not1_b32 exec_lo, exec_lo, s7
	s_cbranch_execnz .LBB7_255
.LBB7_256:
	s_or_b32 exec_lo, exec_lo, s6
	v_mov_b32_e32 v5, 0
	s_mov_b32 s7, exec_lo
	s_mov_b32 s6, exec_lo
	v_mbcnt_lo_u32_b32 v4, s7, 0
	global_load_b64 v[2:3], v5, s[2:3] offset:16
	s_wait_xcnt 0x0
	v_cmpx_eq_u32_e32 0, v4
	s_cbranch_execz .LBB7_258
; %bb.257:
	s_bcnt1_i32_b32 s7, s7
	s_delay_alu instid0(SALU_CYCLE_1)
	v_mov_b32_e32 v4, s7
	global_wb scope:SCOPE_SYS
	s_wait_loadcnt 0x0
	s_wait_storecnt 0x0
	global_atomic_add_u64 v[2:3], v[4:5], off offset:8 scope:SCOPE_SYS
.LBB7_258:
	s_wait_xcnt 0x0
	s_or_b32 exec_lo, exec_lo, s6
	s_wait_loadcnt 0x0
	global_load_b64 v[4:5], v[2:3], off offset:16
	s_wait_loadcnt 0x0
	v_cmp_eq_u64_e32 vcc_lo, 0, v[4:5]
	s_cbranch_vccnz .LBB7_260
; %bb.259:
	global_load_b32 v2, v[2:3], off offset:24
	s_wait_xcnt 0x0
	v_mov_b32_e32 v3, 0
	s_wait_loadcnt 0x0
	v_readfirstlane_b32 s6, v2
	global_wb scope:SCOPE_SYS
	s_wait_storecnt 0x0
	global_store_b64 v[4:5], v[2:3], off scope:SCOPE_SYS
	s_and_b32 m0, s6, 0xffffff
	s_sendmsg sendmsg(MSG_INTERRUPT)
.LBB7_260:
	s_wait_xcnt 0x0
	s_or_b32 exec_lo, exec_lo, s1
	v_add_nc_u64_e32 v[0:1], v[10:11], v[0:1]
	s_branch .LBB7_264
.LBB7_261:                              ;   in Loop: Header=BB7_264 Depth=1
	s_wait_xcnt 0x0
	s_or_b32 exec_lo, exec_lo, s1
	s_delay_alu instid0(VALU_DEP_1)
	v_readfirstlane_b32 s1, v2
	s_cmp_eq_u32 s1, 0
	s_cbranch_scc1 .LBB7_263
; %bb.262:                              ;   in Loop: Header=BB7_264 Depth=1
	s_sleep 1
	s_cbranch_execnz .LBB7_264
	s_branch .LBB7_266
.LBB7_263:
	s_branch .LBB7_266
.LBB7_264:                              ; =>This Inner Loop Header: Depth=1
	v_mov_b32_e32 v2, 1
	s_and_saveexec_b32 s1, s0
	s_cbranch_execz .LBB7_261
; %bb.265:                              ;   in Loop: Header=BB7_264 Depth=1
	global_load_b32 v2, v[12:13], off offset:20 scope:SCOPE_SYS
	s_wait_loadcnt 0x0
	global_inv scope:SCOPE_SYS
	v_and_b32_e32 v2, 1, v2
	s_branch .LBB7_261
.LBB7_266:
	global_load_b64 v[0:1], v[0:1], off
	s_wait_xcnt 0x0
	s_and_saveexec_b32 s6, s0
	s_cbranch_execz .LBB7_270
; %bb.267:
	v_mov_b32_e32 v8, 0
	s_clause 0x2
	global_load_b64 v[2:3], v8, s[2:3] offset:40
	global_load_b64 v[12:13], v8, s[2:3] offset:24 scope:SCOPE_SYS
	global_load_b64 v[4:5], v8, s[2:3]
	s_wait_loadcnt 0x2
	v_readfirstlane_b32 s10, v2
	v_readfirstlane_b32 s11, v3
	s_add_nc_u64 s[0:1], s[10:11], 1
	s_delay_alu instid0(SALU_CYCLE_1) | instskip(NEXT) | instid1(SALU_CYCLE_1)
	s_add_nc_u64 s[4:5], s[0:1], s[4:5]
	s_cmp_eq_u64 s[4:5], 0
	s_cselect_b32 s1, s1, s5
	s_cselect_b32 s0, s0, s4
	v_mov_b32_e32 v11, s1
	s_and_b64 s[4:5], s[0:1], s[10:11]
	v_mov_b32_e32 v10, s0
	s_mul_u64 s[4:5], s[4:5], 24
	s_wait_loadcnt 0x0
	v_add_nc_u64_e32 v[6:7], s[4:5], v[4:5]
	global_store_b64 v[6:7], v[12:13], off
	global_wb scope:SCOPE_SYS
	s_wait_storecnt 0x0
	s_wait_xcnt 0x0
	global_atomic_cmpswap_b64 v[4:5], v8, v[10:13], s[2:3] offset:24 th:TH_ATOMIC_RETURN scope:SCOPE_SYS
	s_wait_loadcnt 0x0
	v_cmp_ne_u64_e32 vcc_lo, v[4:5], v[12:13]
	s_and_b32 exec_lo, exec_lo, vcc_lo
	s_cbranch_execz .LBB7_270
; %bb.268:
	s_mov_b32 s4, 0
.LBB7_269:                              ; =>This Inner Loop Header: Depth=1
	v_dual_mov_b32 v2, s0 :: v_dual_mov_b32 v3, s1
	s_sleep 1
	global_store_b64 v[6:7], v[4:5], off
	global_wb scope:SCOPE_SYS
	s_wait_storecnt 0x0
	s_wait_xcnt 0x0
	global_atomic_cmpswap_b64 v[2:3], v8, v[2:5], s[2:3] offset:24 th:TH_ATOMIC_RETURN scope:SCOPE_SYS
	s_wait_loadcnt 0x0
	v_cmp_eq_u64_e32 vcc_lo, v[2:3], v[4:5]
	v_mov_b64_e32 v[4:5], v[2:3]
	s_or_b32 s4, vcc_lo, s4
	s_delay_alu instid0(SALU_CYCLE_1)
	s_and_not1_b32 exec_lo, exec_lo, s4
	s_cbranch_execnz .LBB7_269
.LBB7_270:
	s_or_b32 exec_lo, exec_lo, s6
	s_get_pc_i64 s[0:1]
	s_add_nc_u64 s[0:1], s[0:1], __FUNCTION__._ZL18flash_attn_ext_vecILi64ELi1EL9ggml_type1ELS0_1ELb1EEvPKcS2_S2_S2_S2_PKiPfP15HIP_vector_typeIfLj2EEffffjfiS6_IjLj3EEiiiiiiiiiiiliiliiiiil@rel64+4
	s_get_pc_i64 s[2:3]
	s_add_nc_u64 s[2:3], s[2:3], __ockl_printf_append_string_n@rel64+4
	s_cmp_lg_u64 s[0:1], 0
	v_dual_mov_b32 v2, s0 :: v_dual_mov_b32 v3, s1
	s_cselect_b32 s4, 19, 0
	s_delay_alu instid0(SALU_CYCLE_1)
	v_dual_mov_b32 v5, 0 :: v_dual_mov_b32 v4, s4
	s_mov_b64 s[14:15], s[8:9]
	s_swap_pc_i64 s[30:31], s[2:3]
	v_dual_mov_b32 v2, 0x514 :: v_dual_mov_b32 v3, 0
	v_mov_b32_e32 v4, 1
	s_get_pc_i64 s[0:1]
	s_add_nc_u64 s[0:1], s[0:1], __ockl_printf_append_args@rel64+4
	s_mov_b64 s[8:9], s[14:15]
	s_swap_pc_i64 s[30:31], s[0:1]
	s_trap 2
.Lfunc_end7:
	.size	_ZL14no_device_codePKciS0_iS0_, .Lfunc_end7-_ZL14no_device_codePKciS0_iS0_
                                        ; -- End function
	.set .L_ZL14no_device_codePKciS0_iS0_.num_vgpr, max(41, .L__ockl_printf_append_string_n.num_vgpr, .L__ockl_printf_append_args.num_vgpr)
	.set .L_ZL14no_device_codePKciS0_iS0_.num_agpr, max(0, .L__ockl_printf_append_string_n.num_agpr, .L__ockl_printf_append_args.num_agpr)
	.set .L_ZL14no_device_codePKciS0_iS0_.numbered_sgpr, max(34, .L__ockl_printf_append_string_n.numbered_sgpr, .L__ockl_printf_append_args.numbered_sgpr)
	.set .L_ZL14no_device_codePKciS0_iS0_.num_named_barrier, max(0, .L__ockl_printf_append_string_n.num_named_barrier, .L__ockl_printf_append_args.num_named_barrier)
	.set .L_ZL14no_device_codePKciS0_iS0_.private_seg_size, 16+max(.L__ockl_printf_append_string_n.private_seg_size, .L__ockl_printf_append_args.private_seg_size)
	.set .L_ZL14no_device_codePKciS0_iS0_.uses_vcc, or(1, .L__ockl_printf_append_string_n.uses_vcc, .L__ockl_printf_append_args.uses_vcc)
	.set .L_ZL14no_device_codePKciS0_iS0_.uses_flat_scratch, or(0, .L__ockl_printf_append_string_n.uses_flat_scratch, .L__ockl_printf_append_args.uses_flat_scratch)
	.set .L_ZL14no_device_codePKciS0_iS0_.has_dyn_sized_stack, or(0, .L__ockl_printf_append_string_n.has_dyn_sized_stack, .L__ockl_printf_append_args.has_dyn_sized_stack)
	.set .L_ZL14no_device_codePKciS0_iS0_.has_recursion, or(0, .L__ockl_printf_append_string_n.has_recursion, .L__ockl_printf_append_args.has_recursion)
	.set .L_ZL14no_device_codePKciS0_iS0_.has_indirect_call, or(0, .L__ockl_printf_append_string_n.has_indirect_call, .L__ockl_printf_append_args.has_indirect_call)
	.section	.AMDGPU.csdata,"",@progbits
; Function info:
; codeLenInByte = 11008
; TotalNumSgprs: 36
; NumVgprs: 50
; ScratchSize: 16
; MemoryBound: 0
	.section	.text._ZL18flash_attn_ext_vecILi64ELi1EL9ggml_type1ELS0_1ELb1EEvPKcS2_S2_S2_S2_PKiPfP15HIP_vector_typeIfLj2EEffffjfiS6_IjLj3EEiiiiiiiiiiiliiliiiiil,"axG",@progbits,_ZL18flash_attn_ext_vecILi64ELi1EL9ggml_type1ELS0_1ELb1EEvPKcS2_S2_S2_S2_PKiPfP15HIP_vector_typeIfLj2EEffffjfiS6_IjLj3EEiiiiiiiiiiiliiliiiiil,comdat
	.globl	_ZL18flash_attn_ext_vecILi64ELi1EL9ggml_type1ELS0_1ELb1EEvPKcS2_S2_S2_S2_PKiPfP15HIP_vector_typeIfLj2EEffffjfiS6_IjLj3EEiiiiiiiiiiiliiliiiiil ; -- Begin function _ZL18flash_attn_ext_vecILi64ELi1EL9ggml_type1ELS0_1ELb1EEvPKcS2_S2_S2_S2_PKiPfP15HIP_vector_typeIfLj2EEffffjfiS6_IjLj3EEiiiiiiiiiiiliiliiiiil
	.p2align	8
	.type	_ZL18flash_attn_ext_vecILi64ELi1EL9ggml_type1ELS0_1ELb1EEvPKcS2_S2_S2_S2_PKiPfP15HIP_vector_typeIfLj2EEffffjfiS6_IjLj3EEiiiiiiiiiiiliiliiiiil,@function
_ZL18flash_attn_ext_vecILi64ELi1EL9ggml_type1ELS0_1ELb1EEvPKcS2_S2_S2_S2_PKiPfP15HIP_vector_typeIfLj2EEffffjfiS6_IjLj3EEiiiiiiiiiiiliiliiiiil: ; @_ZL18flash_attn_ext_vecILi64ELi1EL9ggml_type1ELS0_1ELb1EEvPKcS2_S2_S2_S2_PKiPfP15HIP_vector_typeIfLj2EEffffjfiS6_IjLj3EEiiiiiiiiiiiliiliiiiil
; %bb.0:
	s_get_pc_i64 s[2:3]
	s_add_nc_u64 s[2:3], s[2:3], _ZL14no_device_codePKciS0_iS0_@rel64+4
	s_add_nc_u64 s[8:9], s[0:1], 0xd0
	s_mov_b32 s32, 0
	s_swap_pc_i64 s[30:31], s[2:3]
	.section	.rodata,"a",@progbits
	.p2align	6, 0x0
	.amdhsa_kernel _ZL18flash_attn_ext_vecILi64ELi1EL9ggml_type1ELS0_1ELb1EEvPKcS2_S2_S2_S2_PKiPfP15HIP_vector_typeIfLj2EEffffjfiS6_IjLj3EEiiiiiiiiiiiliiliiiiil
		.amdhsa_group_segment_fixed_size 0
		.amdhsa_private_segment_fixed_size 16
		.amdhsa_kernarg_size 464
		.amdhsa_user_sgpr_count 2
		.amdhsa_user_sgpr_dispatch_ptr 0
		.amdhsa_user_sgpr_queue_ptr 0
		.amdhsa_user_sgpr_kernarg_segment_ptr 1
		.amdhsa_user_sgpr_dispatch_id 0
		.amdhsa_user_sgpr_kernarg_preload_length 0
		.amdhsa_user_sgpr_kernarg_preload_offset 0
		.amdhsa_user_sgpr_private_segment_size 0
		.amdhsa_wavefront_size32 1
		.amdhsa_uses_dynamic_stack 0
		.amdhsa_enable_private_segment 1
		.amdhsa_system_sgpr_workgroup_id_x 1
		.amdhsa_system_sgpr_workgroup_id_y 0
		.amdhsa_system_sgpr_workgroup_id_z 0
		.amdhsa_system_sgpr_workgroup_info 0
		.amdhsa_system_vgpr_workitem_id 0
		.amdhsa_next_free_vgpr 50
		.amdhsa_next_free_sgpr 34
		.amdhsa_named_barrier_count 0
		.amdhsa_reserve_vcc 1
		.amdhsa_float_round_mode_32 0
		.amdhsa_float_round_mode_16_64 0
		.amdhsa_float_denorm_mode_32 3
		.amdhsa_float_denorm_mode_16_64 3
		.amdhsa_fp16_overflow 0
		.amdhsa_memory_ordered 1
		.amdhsa_forward_progress 1
		.amdhsa_inst_pref_size 1
		.amdhsa_round_robin_scheduling 0
		.amdhsa_exception_fp_ieee_invalid_op 0
		.amdhsa_exception_fp_denorm_src 0
		.amdhsa_exception_fp_ieee_div_zero 0
		.amdhsa_exception_fp_ieee_overflow 0
		.amdhsa_exception_fp_ieee_underflow 0
		.amdhsa_exception_fp_ieee_inexact 0
		.amdhsa_exception_int_div_zero 0
	.end_amdhsa_kernel
	.section	.text._ZL18flash_attn_ext_vecILi64ELi1EL9ggml_type1ELS0_1ELb1EEvPKcS2_S2_S2_S2_PKiPfP15HIP_vector_typeIfLj2EEffffjfiS6_IjLj3EEiiiiiiiiiiiliiliiiiil,"axG",@progbits,_ZL18flash_attn_ext_vecILi64ELi1EL9ggml_type1ELS0_1ELb1EEvPKcS2_S2_S2_S2_PKiPfP15HIP_vector_typeIfLj2EEffffjfiS6_IjLj3EEiiiiiiiiiiiliiliiiiil,comdat
.Lfunc_end8:
	.size	_ZL18flash_attn_ext_vecILi64ELi1EL9ggml_type1ELS0_1ELb1EEvPKcS2_S2_S2_S2_PKiPfP15HIP_vector_typeIfLj2EEffffjfiS6_IjLj3EEiiiiiiiiiiiliiliiiiil, .Lfunc_end8-_ZL18flash_attn_ext_vecILi64ELi1EL9ggml_type1ELS0_1ELb1EEvPKcS2_S2_S2_S2_PKiPfP15HIP_vector_typeIfLj2EEffffjfiS6_IjLj3EEiiiiiiiiiiiliiliiiiil
                                        ; -- End function
	.set _ZL18flash_attn_ext_vecILi64ELi1EL9ggml_type1ELS0_1ELb1EEvPKcS2_S2_S2_S2_PKiPfP15HIP_vector_typeIfLj2EEffffjfiS6_IjLj3EEiiiiiiiiiiiliiliiiiil.num_vgpr, max(0, .L_ZL14no_device_codePKciS0_iS0_.num_vgpr)
	.set _ZL18flash_attn_ext_vecILi64ELi1EL9ggml_type1ELS0_1ELb1EEvPKcS2_S2_S2_S2_PKiPfP15HIP_vector_typeIfLj2EEffffjfiS6_IjLj3EEiiiiiiiiiiiliiliiiiil.num_agpr, max(0, .L_ZL14no_device_codePKciS0_iS0_.num_agpr)
	.set _ZL18flash_attn_ext_vecILi64ELi1EL9ggml_type1ELS0_1ELb1EEvPKcS2_S2_S2_S2_PKiPfP15HIP_vector_typeIfLj2EEffffjfiS6_IjLj3EEiiiiiiiiiiiliiliiiiil.numbered_sgpr, max(33, .L_ZL14no_device_codePKciS0_iS0_.numbered_sgpr)
	.set _ZL18flash_attn_ext_vecILi64ELi1EL9ggml_type1ELS0_1ELb1EEvPKcS2_S2_S2_S2_PKiPfP15HIP_vector_typeIfLj2EEffffjfiS6_IjLj3EEiiiiiiiiiiiliiliiiiil.num_named_barrier, max(0, .L_ZL14no_device_codePKciS0_iS0_.num_named_barrier)
	.set _ZL18flash_attn_ext_vecILi64ELi1EL9ggml_type1ELS0_1ELb1EEvPKcS2_S2_S2_S2_PKiPfP15HIP_vector_typeIfLj2EEffffjfiS6_IjLj3EEiiiiiiiiiiiliiliiiiil.private_seg_size, 0+max(.L_ZL14no_device_codePKciS0_iS0_.private_seg_size)
	.set _ZL18flash_attn_ext_vecILi64ELi1EL9ggml_type1ELS0_1ELb1EEvPKcS2_S2_S2_S2_PKiPfP15HIP_vector_typeIfLj2EEffffjfiS6_IjLj3EEiiiiiiiiiiiliiliiiiil.uses_vcc, or(1, .L_ZL14no_device_codePKciS0_iS0_.uses_vcc)
	.set _ZL18flash_attn_ext_vecILi64ELi1EL9ggml_type1ELS0_1ELb1EEvPKcS2_S2_S2_S2_PKiPfP15HIP_vector_typeIfLj2EEffffjfiS6_IjLj3EEiiiiiiiiiiiliiliiiiil.uses_flat_scratch, or(0, .L_ZL14no_device_codePKciS0_iS0_.uses_flat_scratch)
	.set _ZL18flash_attn_ext_vecILi64ELi1EL9ggml_type1ELS0_1ELb1EEvPKcS2_S2_S2_S2_PKiPfP15HIP_vector_typeIfLj2EEffffjfiS6_IjLj3EEiiiiiiiiiiiliiliiiiil.has_dyn_sized_stack, or(0, .L_ZL14no_device_codePKciS0_iS0_.has_dyn_sized_stack)
	.set _ZL18flash_attn_ext_vecILi64ELi1EL9ggml_type1ELS0_1ELb1EEvPKcS2_S2_S2_S2_PKiPfP15HIP_vector_typeIfLj2EEffffjfiS6_IjLj3EEiiiiiiiiiiiliiliiiiil.has_recursion, or(0, .L_ZL14no_device_codePKciS0_iS0_.has_recursion)
	.set _ZL18flash_attn_ext_vecILi64ELi1EL9ggml_type1ELS0_1ELb1EEvPKcS2_S2_S2_S2_PKiPfP15HIP_vector_typeIfLj2EEffffjfiS6_IjLj3EEiiiiiiiiiiiliiliiiiil.has_indirect_call, or(0, .L_ZL14no_device_codePKciS0_iS0_.has_indirect_call)
	.section	.AMDGPU.csdata,"",@progbits
; Kernel info:
; codeLenInByte = 32
; TotalNumSgprs: 36
; NumVgprs: 50
; ScratchSize: 16
; MemoryBound: 0
; FloatMode: 240
; IeeeMode: 1
; LDSByteSize: 0 bytes/workgroup (compile time only)
; SGPRBlocks: 0
; VGPRBlocks: 3
; NumSGPRsForWavesPerEU: 36
; NumVGPRsForWavesPerEU: 50
; NamedBarCnt: 0
; Occupancy: 16
; WaveLimiterHint : 1
; COMPUTE_PGM_RSRC2:SCRATCH_EN: 1
; COMPUTE_PGM_RSRC2:USER_SGPR: 2
; COMPUTE_PGM_RSRC2:TRAP_HANDLER: 0
; COMPUTE_PGM_RSRC2:TGID_X_EN: 1
; COMPUTE_PGM_RSRC2:TGID_Y_EN: 0
; COMPUTE_PGM_RSRC2:TGID_Z_EN: 0
; COMPUTE_PGM_RSRC2:TIDIG_COMP_CNT: 0
	.section	.text._ZL18flash_attn_ext_vecILi64ELi2EL9ggml_type1ELS0_1ELb0EEvPKcS2_S2_S2_S2_PKiPfP15HIP_vector_typeIfLj2EEffffjfiS6_IjLj3EEiiiiiiiiiiiliiliiiiil,"axG",@progbits,_ZL18flash_attn_ext_vecILi64ELi2EL9ggml_type1ELS0_1ELb0EEvPKcS2_S2_S2_S2_PKiPfP15HIP_vector_typeIfLj2EEffffjfiS6_IjLj3EEiiiiiiiiiiiliiliiiiil,comdat
	.globl	_ZL18flash_attn_ext_vecILi64ELi2EL9ggml_type1ELS0_1ELb0EEvPKcS2_S2_S2_S2_PKiPfP15HIP_vector_typeIfLj2EEffffjfiS6_IjLj3EEiiiiiiiiiiiliiliiiiil ; -- Begin function _ZL18flash_attn_ext_vecILi64ELi2EL9ggml_type1ELS0_1ELb0EEvPKcS2_S2_S2_S2_PKiPfP15HIP_vector_typeIfLj2EEffffjfiS6_IjLj3EEiiiiiiiiiiiliiliiiiil
	.p2align	8
	.type	_ZL18flash_attn_ext_vecILi64ELi2EL9ggml_type1ELS0_1ELb0EEvPKcS2_S2_S2_S2_PKiPfP15HIP_vector_typeIfLj2EEffffjfiS6_IjLj3EEiiiiiiiiiiiliiliiiiil,@function
_ZL18flash_attn_ext_vecILi64ELi2EL9ggml_type1ELS0_1ELb0EEvPKcS2_S2_S2_S2_PKiPfP15HIP_vector_typeIfLj2EEffffjfiS6_IjLj3EEiiiiiiiiiiiliiliiiiil: ; @_ZL18flash_attn_ext_vecILi64ELi2EL9ggml_type1ELS0_1ELb0EEvPKcS2_S2_S2_S2_PKiPfP15HIP_vector_typeIfLj2EEffffjfiS6_IjLj3EEiiiiiiiiiiiliiliiiiil
; %bb.0:
	s_clause 0x2
	s_load_b64 s[34:35], s[2:3], 0x64
	s_load_b64 s[46:47], s[2:3], 0x80
	;; [unrolled: 1-line block ×3, first 2 shown]
	s_bfe_u32 s6, ttmp6, 0x40014
	s_lshr_b32 s5, ttmp7, 16
	s_add_co_i32 s6, s6, 1
	s_bfe_u32 s7, ttmp6, 0x40008
	s_mul_i32 s6, s5, s6
	s_getreg_b32 s28, hwreg(HW_REG_IB_STS2, 6, 4)
	s_add_co_i32 s7, s7, s6
	v_mov_b32_e32 v70, 1.0
	s_mov_b32 s43, 0
	s_wait_kmcnt 0x0
	s_cvt_f32_u32 s4, s35
	s_sub_co_i32 s8, 0, s35
	s_delay_alu instid0(SALU_CYCLE_2) | instskip(SKIP_1) | instid1(TRANS32_DEP_1)
	v_rcp_iflag_f32_e32 v1, s4
	v_nop
	v_readfirstlane_b32 s4, v1
	s_mul_f32 s4, s4, 0x4f7ffffe
	s_delay_alu instid0(SALU_CYCLE_3) | instskip(NEXT) | instid1(SALU_CYCLE_3)
	s_cvt_u32_f32 s4, s4
	s_mul_i32 s8, s8, s4
	s_delay_alu instid0(SALU_CYCLE_1) | instskip(NEXT) | instid1(SALU_CYCLE_1)
	s_mul_hi_u32 s8, s4, s8
	s_add_co_i32 s4, s4, s8
	s_cmp_eq_u32 s28, 0
	s_cselect_b32 s5, s5, s7
	s_delay_alu instid0(SALU_CYCLE_1) | instskip(NEXT) | instid1(SALU_CYCLE_1)
	s_mul_hi_u32 s4, s5, s4
	s_mul_i32 s6, s4, s35
	s_add_co_i32 s7, s4, 1
	s_sub_co_i32 s6, s5, s6
	s_delay_alu instid0(SALU_CYCLE_1)
	s_sub_co_i32 s8, s6, s35
	s_cmp_ge_u32 s6, s35
	s_cselect_b32 s4, s7, s4
	s_cselect_b32 s6, s8, s6
	s_add_co_i32 s7, s4, 1
	s_cmp_ge_u32 s6, s35
	s_cselect_b32 s36, s7, s4
	s_abs_i32 s8, s47
	s_abs_i32 s9, s35
	s_cvt_f32_u32 s4, s8
	s_sub_co_i32 s6, 0, s8
	s_xor_b32 s7, s35, s47
	s_delay_alu instid0(SALU_CYCLE_1) | instskip(SKIP_2) | instid1(TRANS32_DEP_1)
	v_rcp_iflag_f32_e32 v1, s4
	s_ashr_i32 s13, s7, 31
	v_nop
	v_readfirstlane_b32 s4, v1
	s_mul_f32 s4, s4, 0x4f7ffffe
	s_delay_alu instid0(SALU_CYCLE_3) | instskip(NEXT) | instid1(SALU_CYCLE_3)
	s_cvt_u32_f32 s4, s4
	s_mul_i32 s6, s6, s4
	s_delay_alu instid0(SALU_CYCLE_1) | instskip(NEXT) | instid1(SALU_CYCLE_1)
	s_mul_hi_u32 s6, s4, s6
	s_add_co_i32 s4, s4, s6
	s_mul_i32 s6, s36, s35
	s_mul_hi_u32 s12, s9, s4
	s_sub_co_i32 s33, s5, s6
	s_mul_i32 s4, s12, s8
	s_add_co_i32 s14, s12, 1
	s_sub_co_i32 s9, s9, s4
	s_load_b128 s[4:7], s[2:3], 0x40
	s_sub_co_i32 s15, s9, s8
	s_cmp_ge_u32 s9, s8
	s_cselect_b32 s12, s14, s12
	s_cselect_b32 s9, s15, s9
	s_add_co_i32 s14, s12, 1
	s_cmp_ge_u32 s9, s8
	s_cselect_b32 s8, s14, s12
	s_abs_i32 s38, s10
	s_xor_b32 s9, s8, s13
	s_load_b32 s8, s[2:3], 0x50
	s_sub_co_i32 s29, s9, s13
	s_cvt_f32_u32 s9, s38
	s_abs_i32 s44, s29
	s_delay_alu instid0(SALU_CYCLE_1) | instskip(NEXT) | instid1(SALU_CYCLE_1)
	s_cvt_f32_u32 s10, s44
	v_rcp_iflag_f32_e32 v1, s9
	s_wait_kmcnt 0x0
	s_cmp_le_f32 s5, 0
	v_rcp_iflag_f32_e32 v2, s10
	s_delay_alu instid0(TRANS32_DEP_2) | instskip(NEXT) | instid1(TRANS32_DEP_1)
	v_readfirstlane_b32 s5, v1
	v_readfirstlane_b32 s30, v2
	s_cbranch_scc1 .LBB9_2
; %bb.1:
	v_sub_co_u32 v1, s8, s33, s8
	s_and_b32 s10, s8, exec_lo
	s_cselect_b32 s6, s6, s7
	v_readfirstlane_b32 s9, v1
	s_lshl_b32 s7, s9, 1
	s_add_co_i32 s9, s33, 1
	s_or_b32 s7, s7, 1
	s_and_b32 s8, s8, exec_lo
	s_cselect_b32 s7, s9, s7
	s_cmp_neq_f32 s6, 1.0
	s_cvt_f32_i32 s7, s7
	s_delay_alu instid0(SALU_CYCLE_3) | instskip(NEXT) | instid1(SALU_CYCLE_1)
	s_cselect_b32 s7, s7, 1.0
	s_cmp_neq_f32 s7, 0
	s_cselect_b32 s6, s6, 1.0
	s_delay_alu instid0(SALU_CYCLE_1) | instskip(NEXT) | instid1(VALU_DEP_1)
	v_cvt_f64_f32_e64 v[2:3], |s6|
	v_frexp_exp_i32_f64_e32 v1, v[2:3]
	v_frexp_mant_f32_e64 v2, |s6|
	s_delay_alu instid0(VALU_DEP_1) | instskip(SKIP_2) | instid1(SALU_CYCLE_1)
	v_readfirstlane_b32 s8, v2
	s_cmp_lt_f32 s8, 0x3f2aaaab
	s_cselect_b32 vcc_lo, -1, 0
	s_and_b32 s9, vcc_lo, exec_lo
	s_cselect_b32 s9, 2.0, 1.0
	s_delay_alu instid0(SALU_CYCLE_1) | instskip(NEXT) | instid1(SALU_CYCLE_3)
	s_mul_f32 s8, s8, s9
	s_add_f32 s9, s8, 1.0
	s_add_f32 s12, s8, -1.0
	s_delay_alu instid0(SALU_CYCLE_2) | instskip(SKIP_2) | instid1(SALU_CYCLE_2)
	v_s_rcp_f32 s10, s9
	s_add_f32 s15, s9, -1.0
	v_subrev_co_ci_u32_e64 v1, null, 0, v1, vcc_lo
	s_sub_f32 s8, s8, s15
	s_delay_alu instid0(TRANS32_DEP_1) | instskip(SKIP_1) | instid1(SALU_CYCLE_2)
	s_mul_f32 s13, s12, s10
	v_cvt_f32_i32_e32 v1, v1
	s_mul_f32 s14, s9, s13
	s_delay_alu instid0(SALU_CYCLE_3) | instskip(SKIP_1) | instid1(SALU_CYCLE_1)
	v_dual_mov_b32 v3, s12 :: v_dual_mov_b32 v4, s14
	s_xor_b32 s16, s14, 0x80000000
	s_fmac_f32 s16, s13, s9
	s_delay_alu instid0(SALU_CYCLE_3) | instskip(NEXT) | instid1(SALU_CYCLE_3)
	s_fmac_f32 s16, s13, s8
	s_add_f32 s8, s14, s16
	v_mov_b32_e32 v6, s16
	s_mov_b32 s14, 0x3e76c4e1
	s_delay_alu instid0(SALU_CYCLE_1) | instskip(SKIP_1) | instid1(SALU_CYCLE_2)
	s_sub_f32 s9, s12, s8
	v_dual_mov_b32 v2, s8 :: v_dual_mov_b32 v7, s8
	v_mov_b32_e32 v5, s9
	s_delay_alu instid0(VALU_DEP_1) | instskip(NEXT) | instid1(VALU_DEP_1)
	v_pk_add_f32 v[2:3], v[2:3], v[4:5] neg_lo:[0,1] neg_hi:[0,1]
	v_pk_add_f32 v[2:3], v[2:3], v[6:7] neg_lo:[0,1] neg_hi:[0,1]
	s_delay_alu instid0(VALU_DEP_1) | instskip(NEXT) | instid1(VALU_DEP_2)
	v_readfirstlane_b32 s8, v3
	v_readfirstlane_b32 s12, v2
	s_add_f32 s8, s12, s8
	s_delay_alu instid0(SALU_CYCLE_3) | instskip(NEXT) | instid1(SALU_CYCLE_3)
	s_add_f32 s8, s9, s8
	s_mul_f32 s9, s10, s8
	s_delay_alu instid0(SALU_CYCLE_3) | instskip(NEXT) | instid1(SALU_CYCLE_3)
	s_add_f32 s8, s13, s9
	s_sub_f32 s10, s8, s13
	s_mul_f32 s13, s8, s8
	s_delay_alu instid0(SALU_CYCLE_2) | instskip(NEXT) | instid1(SALU_CYCLE_2)
	s_sub_f32 s10, s9, s10
	s_xor_b32 s9, s13, 0x80000000
	s_delay_alu instid0(SALU_CYCLE_1) | instskip(NEXT) | instid1(SALU_CYCLE_1)
	s_fmac_f32 s9, s8, s8
	s_add_f32 s12, s10, s10
	s_delay_alu instid0(SALU_CYCLE_3) | instskip(NEXT) | instid1(SALU_CYCLE_3)
	s_fmac_f32 s9, s8, s12
	s_add_f32 s12, s13, s9
	s_delay_alu instid0(SALU_CYCLE_3) | instskip(SKIP_1) | instid1(SALU_CYCLE_2)
	s_fmaak_f32 s14, s12, s14, 0x3e91f4c4
	s_sub_f32 s13, s12, s13
	s_fmaak_f32 s14, s12, s14, 0x3ecccdef
	s_delay_alu instid0(SALU_CYCLE_2) | instskip(NEXT) | instid1(SALU_CYCLE_2)
	s_sub_f32 s17, s9, s13
	s_mul_f32 s15, s12, s14
	s_delay_alu instid0(SALU_CYCLE_3) | instskip(NEXT) | instid1(SALU_CYCLE_1)
	s_xor_b32 s16, s15, 0x80000000
	s_fmac_f32 s16, s12, s14
	s_delay_alu instid0(SALU_CYCLE_3) | instskip(NEXT) | instid1(SALU_CYCLE_3)
	s_fmac_f32 s16, s17, s14
	s_add_f32 s13, s15, s16
	s_delay_alu instid0(SALU_CYCLE_3) | instskip(SKIP_1) | instid1(SALU_CYCLE_2)
	s_sub_f32 s9, s13, s15
	s_add_f32 s14, s13, 0x3f2aaaaa
	s_sub_f32 s9, s16, s9
	s_delay_alu instid0(SALU_CYCLE_2) | instskip(NEXT) | instid1(SALU_CYCLE_2)
	s_add_f32 s15, s14, 0xbf2aaaaa
	s_add_f32 s9, s9, 0x31739010
	s_delay_alu instid0(SALU_CYCLE_2) | instskip(NEXT) | instid1(SALU_CYCLE_2)
	s_sub_f32 s13, s13, s15
	v_mov_b64_e32 v[2:3], s[8:9]
	s_delay_alu instid0(SALU_CYCLE_2) | instskip(NEXT) | instid1(VALU_DEP_1)
	v_mov_b64_e32 v[4:5], s[12:13]
	v_pk_mul_f32 v[6:7], v[2:3], v[4:5]
	v_pk_add_f32 v[2:3], v[2:3], v[4:5]
	v_mov_b32_e32 v9, s14
	s_delay_alu instid0(VALU_DEP_3) | instskip(NEXT) | instid1(VALU_DEP_3)
	v_xor_b32_e32 v8, 0x80000000, v6
	v_mov_b32_e32 v7, v3
	s_delay_alu instid0(VALU_DEP_2) | instskip(NEXT) | instid1(VALU_DEP_1)
	v_fmac_f32_e64 v8, s12, s8
	v_fmac_f32_e64 v8, s12, s10
	s_delay_alu instid0(VALU_DEP_1) | instskip(NEXT) | instid1(VALU_DEP_1)
	v_fmac_f32_e64 v8, s17, s8
	v_pk_add_f32 v[4:5], v[6:7], v[8:9]
	s_delay_alu instid0(VALU_DEP_1) | instskip(SKIP_1) | instid1(VALU_DEP_2)
	v_dual_mov_b32 v2, v5 :: v_dual_sub_f32 v7, s14, v5
	v_mul_f32_e32 v12, 0x3f317218, v1
	v_pk_mul_f32 v[10:11], v[4:5], v[2:3]
	s_delay_alu instid0(VALU_DEP_3) | instskip(NEXT) | instid1(VALU_DEP_3)
	v_add_f32_e32 v3, v3, v7
	v_xor_b32_e32 v7, 0x80000000, v12
	s_delay_alu instid0(VALU_DEP_3) | instskip(NEXT) | instid1(VALU_DEP_2)
	v_xor_b32_e32 v2, 0x80000000, v10
	v_dual_sub_f32 v6, v4, v6 :: v_dual_fmac_f32 v7, 0x3f317218, v1
	s_delay_alu instid0(VALU_DEP_2) | instskip(NEXT) | instid1(VALU_DEP_2)
	v_fmac_f32_e32 v2, v4, v5
	v_sub_f32_e32 v6, v8, v6
	s_delay_alu instid0(VALU_DEP_2) | instskip(NEXT) | instid1(VALU_DEP_1)
	v_fmac_f32_e32 v2, v4, v3
	v_fmac_f32_e32 v2, v6, v5
	v_fmamk_f32 v4, v1, 0xb102e308, v7
	v_ldexp_f32 v5, s8, 1
	v_ldexp_f32 v1, s10, 1
	s_delay_alu instid0(VALU_DEP_2) | instskip(NEXT) | instid1(VALU_DEP_1)
	v_dual_add_f32 v13, v10, v2 :: v_dual_mov_b32 v11, v5
	v_pk_add_f32 v[6:7], v[12:13], v[4:5]
	v_dual_mov_b32 v8, v13 :: v_dual_mov_b32 v3, v13
	s_delay_alu instid0(VALU_DEP_2) | instskip(SKIP_1) | instid1(VALU_DEP_2)
	v_dual_mov_b32 v9, v7 :: v_dual_mov_b32 v5, v6
	v_mov_b32_e32 v14, v7
	v_pk_add_f32 v[8:9], v[8:9], v[10:11] neg_lo:[0,1] neg_hi:[0,1]
	s_delay_alu instid0(VALU_DEP_1) | instskip(NEXT) | instid1(VALU_DEP_1)
	v_pk_add_f32 v[2:3], v[2:3], v[8:9] neg_lo:[0,1] neg_hi:[0,1]
	v_add_f32_e32 v1, v1, v2
	s_delay_alu instid0(VALU_DEP_1) | instskip(NEXT) | instid1(VALU_DEP_1)
	v_add_f32_e32 v13, v1, v3
	v_pk_add_f32 v[2:3], v[6:7], v[12:13]
	v_pk_add_f32 v[8:9], v[6:7], v[12:13] neg_lo:[0,1] neg_hi:[0,1]
	s_delay_alu instid0(VALU_DEP_2) | instskip(NEXT) | instid1(VALU_DEP_1)
	v_mov_b32_e32 v9, v3
	v_pk_add_f32 v[10:11], v[4:5], v[8:9]
	v_pk_add_f32 v[4:5], v[4:5], v[8:9] neg_lo:[0,1] neg_hi:[0,1]
	v_dual_mov_b32 v16, v3 :: v_dual_mov_b32 v5, v6
	s_delay_alu instid0(VALU_DEP_3) | instskip(NEXT) | instid1(VALU_DEP_3)
	v_dual_mov_b32 v12, v11 :: v_dual_mov_b32 v17, v11
	v_readfirstlane_b32 s8, v4
	s_delay_alu instid0(VALU_DEP_2) | instskip(NEXT) | instid1(VALU_DEP_2)
	v_pk_add_f32 v[8:9], v[12:13], v[6:7] neg_lo:[0,1] neg_hi:[0,1]
	v_dual_mov_b32 v4, v13 :: v_dual_mov_b32 v10, s8
	s_delay_alu instid0(VALU_DEP_2) | instskip(NEXT) | instid1(VALU_DEP_1)
	v_dual_mov_b32 v15, v8 :: v_dual_mov_b32 v1, v8
	v_pk_add_f32 v[6:7], v[16:17], v[14:15] neg_lo:[0,1] neg_hi:[0,1]
	s_delay_alu instid0(VALU_DEP_2) | instskip(SKIP_1) | instid1(VALU_DEP_3)
	v_pk_add_f32 v[2:3], v[2:3], v[0:1] neg_lo:[0,1] neg_hi:[0,1]
	v_mov_b32_e32 v2, s8
	v_pk_add_f32 v[4:5], v[4:5], v[6:7] neg_lo:[0,1] neg_hi:[0,1]
	s_delay_alu instid0(VALU_DEP_1) | instskip(NEXT) | instid1(VALU_DEP_1)
	v_pk_add_f32 v[2:3], v[2:3], v[4:5]
	v_readfirstlane_b32 s9, v2
	s_delay_alu instid0(VALU_DEP_2) | instskip(NEXT) | instid1(VALU_DEP_1)
	v_mov_b32_e32 v6, v3
	v_pk_add_f32 v[6:7], v[2:3], v[6:7]
	s_delay_alu instid0(VALU_DEP_3) | instskip(NEXT) | instid1(VALU_DEP_2)
	v_mov_b32_e32 v2, s9
	v_pk_add_f32 v[8:9], v[12:13], v[6:7]
	v_mov_b32_e32 v5, v6
	s_delay_alu instid0(VALU_DEP_2) | instskip(NEXT) | instid1(VALU_DEP_1)
	v_readfirstlane_b32 s10, v8
	v_mov_b32_e32 v3, s10
	s_delay_alu instid0(VALU_DEP_1) | instskip(NEXT) | instid1(VALU_DEP_1)
	v_pk_add_f32 v[2:3], v[2:3], v[10:11] neg_lo:[0,1] neg_hi:[0,1]
	v_readfirstlane_b32 s12, v2
	s_delay_alu instid0(VALU_DEP_2) | instskip(SKIP_1) | instid1(VALU_DEP_1)
	v_pk_add_f32 v[2:3], v[4:5], v[2:3] neg_lo:[0,1] neg_hi:[0,1]
	s_sub_f32 s9, s9, s12
	v_readfirstlane_b32 s12, v2
	s_delay_alu instid0(SALU_CYCLE_2) | instskip(SKIP_1) | instid1(SALU_CYCLE_2)
	s_sub_f32 s8, s8, s9
	v_readfirstlane_b32 s9, v3
	s_add_f32 s8, s12, s8
	s_delay_alu instid0(SALU_CYCLE_3) | instskip(NEXT) | instid1(SALU_CYCLE_3)
	s_add_f32 s8, s8, s9
	s_add_f32 s9, s10, s8
	s_delay_alu instid0(SALU_CYCLE_3) | instskip(SKIP_1) | instid1(SALU_CYCLE_2)
	s_mul_f32 s12, s7, s9
	s_sub_f32 s10, s9, s10
	s_xor_b32 s13, s12, 0x80000000
	s_delay_alu instid0(SALU_CYCLE_2) | instskip(SKIP_1) | instid1(SALU_CYCLE_3)
	s_sub_f32 s8, s8, s10
	s_fmac_f32 s13, s7, s9
	s_fmac_f32 s13, s7, s8
	v_cmp_class_f32_e64 s8, s12, 0x204
	s_delay_alu instid0(SALU_CYCLE_2) | instskip(SKIP_1) | instid1(SALU_CYCLE_2)
	s_add_f32 s9, s12, s13
	s_and_b32 s8, s8, exec_lo
	s_sub_f32 s8, s9, s12
	s_cselect_b32 s9, s12, s9
	s_delay_alu instid0(SALU_CYCLE_1) | instskip(NEXT) | instid1(SALU_CYCLE_1)
	s_and_b32 s10, s9, 0x7fffffff
	s_sub_f32 s8, s13, s8
	s_cmp_neq_f32 s10, 0x7f800000
	s_delay_alu instid0(SALU_CYCLE_2) | instskip(SKIP_2) | instid1(SALU_CYCLE_1)
	s_cselect_b32 s8, s8, 0
	s_cmp_eq_f32 s9, 0x42b17218
	s_cselect_b32 s10, 0x37000000, 0
	s_sub_f32 s9, s9, s10
	s_add_f32 s8, s10, s8
	s_delay_alu instid0(SALU_CYCLE_2) | instskip(NEXT) | instid1(SALU_CYCLE_3)
	s_mul_f32 s12, s9, 0x3fb8aa3b
	s_xor_b32 s13, s12, 0x80000000
	s_rndne_f32 s14, s12
	s_fmamk_f32 s13, s9, 0x3fb8aa3b, s13
	s_cmp_nlt_f32 s9, 0xc2ce8ed0
	s_delay_alu instid0(SALU_CYCLE_1) | instskip(NEXT) | instid1(SALU_CYCLE_1)
	s_sub_f32 s12, s12, s14
	s_fmamk_f32 s13, s9, 0x32a5705f, s13
	s_cselect_b32 vcc_lo, -1, 0
	s_cmp_ngt_f32 s9, 0x42b17218
	s_trunc_f32 s9, s7
	s_add_f32 s12, s12, s13
	s_cvt_i32_f32 s13, s14
	s_delay_alu instid0(SALU_CYCLE_2)
	v_s_exp_f32 s12, s12
	v_nop
	s_delay_alu instid0(TRANS32_DEP_1) | instid1(SALU_CYCLE_1)
	v_ldexp_f32 v1, s12, s13
	s_mul_f32 s12, s7, 0.5
	s_delay_alu instid0(VALU_DEP_1) | instskip(SKIP_3) | instid1(VALU_DEP_1)
	v_cndmask_b32_e32 v1, 0, v1, vcc_lo
	s_cselect_b32 vcc_lo, -1, 0
	s_cmp_eq_f32 s9, s7
	s_trunc_f32 s13, s12
	v_cndmask_b32_e32 v1, 0x7f800000, v1, vcc_lo
	s_cselect_b32 s14, -1, 0
	s_delay_alu instid0(SALU_CYCLE_1) | instskip(NEXT) | instid1(VALU_DEP_1)
	s_cmp_neq_f32 s13, s12
	v_fma_f32 v2, s8, v1, v1
	v_cmp_class_f32_e64 vcc_lo, v1, 0x204
	s_cselect_b32 s10, -1, 0
	s_delay_alu instid0(SALU_CYCLE_1)
	s_and_b32 s8, s14, s10
	v_cndmask_b32_e32 v1, v2, v1, vcc_lo
	s_and_b32 s10, s8, exec_lo
	s_cselect_b32 s10, s6, 1.0
	s_cmp_eq_f32 s9, s7
	v_cmp_class_f32_e64 s9, s6, 0x204
	v_bfi_b32 v1, 0x7fffffff, v1, s10
	s_cselect_b32 vcc_lo, -1, 0
	s_cmp_lt_f32 s6, 0
	s_delay_alu instid0(VALU_DEP_1) | instskip(SKIP_2) | instid1(VALU_DEP_1)
	v_cndmask_b32_e32 v2, 0x7fc00000, v1, vcc_lo
	s_cselect_b32 vcc_lo, -1, 0
	s_cmp_eq_f32 s6, 0
	v_cndmask_b32_e32 v1, v1, v2, vcc_lo
	s_cselect_b32 s10, -1, 0
	s_delay_alu instid0(SALU_CYCLE_1) | instskip(SKIP_2) | instid1(SALU_CYCLE_1)
	s_or_b32 vcc_lo, s10, s9
	s_cmp_lt_f32 s7, 0
	s_cselect_b32 s7, -1, 0
	s_xor_b32 s7, s7, s10
	s_delay_alu instid0(SALU_CYCLE_1)
	s_and_b32 s7, s7, exec_lo
	s_cselect_b32 s7, 0, 0x7f800000
	s_and_b32 s8, s8, exec_lo
	s_cselect_b32 s8, s6, 0
	s_cmp_o_f32 s6, s6
	v_mov_b32_e32 v2, s8
	s_delay_alu instid0(VALU_DEP_1) | instskip(NEXT) | instid1(VALU_DEP_1)
	v_bfi_b32 v2, 0x7fffffff, s7, v2
	v_cndmask_b32_e32 v1, v1, v2, vcc_lo
	s_cselect_b32 vcc_lo, -1, 0
	s_delay_alu instid0(VALU_DEP_1)
	v_cndmask_b32_e32 v70, 0x7fc00000, v1, vcc_lo
.LBB9_2:
	s_load_b64 s[6:7], s[0:1], 0x4
	s_clause 0x1
	s_load_b96 s[8:10], s[2:3], 0x70
	s_load_b512 s[12:27], s[2:3], 0x0
	s_wait_xcnt 0x0
	s_bfe_u32 s0, ttmp6, 0x4000c
	v_and_b32_e32 v62, 0x3ff, v0
	s_add_co_i32 s0, s0, 1
	v_bfe_u32 v66, v0, 10, 10
	s_and_b32 s1, ttmp6, 15
	s_mul_i32 s0, ttmp9, s0
	v_dual_mov_b32 v1, 0 :: v_dual_lshlrev_b32 v68, 2, v62
	s_add_co_i32 s1, s1, s0
	v_bfe_u32 v0, v0, 20, 10
	s_delay_alu instid0(VALU_DEP_2)
	v_and_b32_e32 v67, 28, v68
	s_wait_kmcnt 0x0
	s_lshr_b32 s0, s6, 16
	s_cmp_eq_u32 s28, 0
	v_mul_u32_u24_e32 v2, s7, v66
	s_mul_i32 s6, s0, s7
	s_cselect_b32 s0, ttmp9, s1
	s_mul_i32 s1, s36, s10
	s_lshl_b32 s48, s0, 1
	v_mad_u32_u24 v2, s6, v62, v2
	s_mul_i32 s6, s8, s48
	s_mul_i32 s7, s33, s9
	s_add_co_i32 s1, s1, s6
	s_delay_alu instid0(SALU_CYCLE_1)
	s_add_co_i32 s6, s1, s7
	v_add_lshl_u32 v9, v2, v0, 5
	v_lshlrev_b32_e32 v0, 3, v67
	s_ashr_i32 s7, s6, 31
	s_cmp_lt_i32 s48, s34
	s_add_nc_u64 s[6:7], s[12:13], s[6:7]
	s_cselect_b32 s10, -1, 0
	v_add_nc_u64_e32 v[2:3], s[6:7], v[0:1]
	s_cmp_ge_i32 s48, s34
	v_add_nc_u32_e32 v4, 0xa04, v9
	v_add_nc_u32_e32 v7, 0x800, v9
	;; [unrolled: 1-line block ×3, first 2 shown]
	s_cselect_b32 s51, -1, 0
	v_add_nc_u32_e32 v6, 0xa14, v9
	s_and_b32 vcc_lo, exec_lo, s51
	ds_store_2addr_b32 v4, v1, v1 offset1:1
	ds_store_2addr_b32 v5, v1, v1 offset1:1
	;; [unrolled: 1-line block ×3, first 2 shown]
	ds_store_2addr_b32 v7, v1, v1 offset0:128 offset1:135
	s_cbranch_vccnz .LBB9_4
; %bb.3:
	s_clause 0x1
	global_load_b128 v[4:7], v[2:3], off
	global_load_b128 v[10:13], v[2:3], off offset:16
	s_wait_loadcnt 0x1
	v_cvt_pk_f16_f32 v1, v4, v5
	v_cvt_pk_f16_f32 v6, v6, v7
	s_wait_loadcnt 0x0
	v_cvt_pk_f16_f32 v5, v10, v11
	v_cvt_pk_f16_f32 v4, v12, v13
	s_branch .LBB9_5
.LBB9_4:
	v_dual_mov_b32 v6, 0 :: v_dual_mov_b32 v5, 0
	v_mov_b32_e32 v4, 0
.LBB9_5:
	s_or_b32 s1, s48, 1
	s_delay_alu instid0(SALU_CYCLE_1)
	s_cmp_lt_i32 s1, s34
	s_cselect_b32 s50, -1, 0
	s_cmp_ge_i32 s1, s34
	s_cbranch_scc1 .LBB9_7
; %bb.6:
	s_ashr_i32 s9, s8, 31
	s_delay_alu instid0(SALU_CYCLE_1)
	v_add_nc_u64_e32 v[2:3], s[8:9], v[2:3]
	s_clause 0x1
	global_load_b128 v[10:13], v[2:3], off
	global_load_b128 v[14:17], v[2:3], off offset:16
	s_wait_loadcnt 0x1
	v_cvt_pk_f16_f32 v7, v10, v11
	v_cvt_pk_f16_f32 v8, v12, v13
	s_wait_loadcnt 0x0
	v_cvt_pk_f16_f32 v3, v14, v15
	v_cvt_pk_f16_f32 v2, v16, v17
	s_cmp_eq_u64 s[22:23], 0
	s_mov_b32 s52, s46
	s_cbranch_scc0 .LBB9_8
	s_branch .LBB9_9
.LBB9_7:
	v_dual_mov_b32 v7, 0 :: v_dual_mov_b32 v8, 0
	v_dual_mov_b32 v3, 0 :: v_dual_mov_b32 v2, 0
	s_cmp_eq_u64 s[22:23], 0
	s_mov_b32 s52, s46
	s_cbranch_scc1 .LBB9_9
.LBB9_8:
	s_load_b32 s1, s[2:3], 0xd0
	s_wait_kmcnt 0x0
	s_mul_i32 s1, s1, s36
	s_delay_alu instid0(SALU_CYCLE_1)
	s_add_co_i32 s1, s1, s0
	s_load_b32 s52, s[22:23], s1 offset:0x0 scale_offset
.LBB9_9:
	v_lshlrev_b32_e32 v0, 5, v66
	s_bfe_u32 s0, ttmp6, 0x40010
	s_wait_xcnt 0x0
	s_and_b32 s1, ttmp7, 0xffff
	s_add_co_i32 s0, s0, 1
	s_bfe_u32 s6, ttmp6, 0x40004
	s_mul_i32 s0, s1, s0
	v_add_nc_u32_e32 v63, v0, v62
	s_add_co_i32 s6, s6, s0
	s_cmp_eq_u32 s28, 0
	v_add_nc_u32_e32 v65, 0xa00, v9
	s_cselect_b32 s49, s1, s6
	v_lshlrev_b32_e32 v64, 1, v63
	v_mbcnt_lo_u32_b32 v69, -1, 0
	s_lshl_b32 s53, s49, 7
	s_mov_b32 s39, 0
	s_wait_kmcnt 0x0
	s_cmp_ge_i32 s53, s52
	s_add_nc_u64 s[22:23], s[2:3], 0xd0
	s_cbranch_scc1 .LBB9_45
; %bb.10:
	s_mul_f32 s0, s30, 0x4f7ffffe
	s_mul_f32 s1, s5, 0x4f7ffffe
	s_sub_co_i32 s5, 0, s44
	s_sub_co_i32 s6, 0, s38
	s_cvt_u32_f32 s7, s0
	s_cvt_u32_f32 s1, s1
	s_abs_i32 s42, s33
	s_cvt_f16_f32 s12, s4
	s_mul_i32 s5, s5, s7
	s_mul_i32 s6, s6, s1
	s_mul_hi_u32 s5, s7, s5
	s_mul_hi_u32 s8, s1, s6
	s_add_co_i32 s6, s7, s5
	s_mov_b32 s7, s43
	s_ashr_i32 s9, s33, 31
	s_mul_u64 s[4:5], s[42:43], s[6:7]
	s_ashr_i32 s13, s29, 31
	s_mul_i32 s4, s5, s44
	s_clause 0x1
	s_load_b64 s[40:41], s[2:3], 0x8c
	s_load_b128 s[28:31], s[2:3], 0x98
	s_sub_co_i32 s4, s42, s4
	s_abs_i32 s0, s36
	s_add_co_i32 s8, s1, s8
	s_ashr_i32 s37, s36, 31
	s_and_b32 s6, 0xffff, s12
	s_xor_b32 s7, s9, s13
	s_add_co_i32 s12, s5, 1
	s_sub_co_i32 s13, s4, s44
	s_cmp_ge_u32 s4, s44
	s_mov_b32 s1, s43
	s_cselect_b32 s12, s12, s5
	s_cselect_b32 s4, s13, s4
	s_add_co_i32 s13, s12, 1
	s_cmp_ge_u32 s4, s44
	s_mul_i32 s44, s6, 0x10001
	s_mov_b32 s9, s43
	v_pk_mul_f16 v93, v1, s44
	v_and_b32_e32 v1, 0x78, v62
	v_pk_mul_f16 v91, v3, s44
	v_and_b32_e32 v3, 7, v62
	v_pk_mul_f16 v92, v2, s44
	v_pk_mul_f16 v96, v4, s44
	v_dual_add_nc_u32 v14, v0, v1 :: v_dual_lshlrev_b32 v1, 3, v62
	v_dual_mov_b32 v23, 0 :: v_dual_lshrrev_b32 v4, 3, v62
	s_mul_u64 s[4:5], s[0:1], s[8:9]
	s_wait_kmcnt 0x0
	s_delay_alu instid0(VALU_DEP_2)
	v_mul_lo_u32 v16, v14, s40
	s_cselect_b32 s1, s13, s12
	s_clause 0x1
	s_load_b64 s[8:9], s[2:3], 0xa8
	s_load_b64 s[12:13], s[2:3], 0xc8
	s_xor_b32 s1, s1, s7
	s_mul_i32 s5, s5, s38
	s_sub_co_i32 s1, s1, s7
	s_sub_co_i32 s0, s0, s5
	s_mul_i32 s6, s1, s41
	v_and_b32_e32 v2, 56, v1
	s_mul_i32 s4, s1, s31
	s_ashr_i32 s7, s6, 31
	v_add_nc_u32_e32 v18, s40, v16
	s_ashr_i32 s5, s4, 31
	v_add_nc_u32_e32 v26, s46, v14
	s_sub_co_i32 s1, s0, s38
	s_cmp_ge_u32 s0, s38
	v_add_nc_u32_e32 v20, s40, v18
	s_cselect_b32 s0, s1, s0
	v_ashrrev_i32_e32 v27, 31, v26
	s_sub_co_i32 s1, s0, s38
	v_pk_mul_f16 v95, v5, s44
	v_add_nc_u32_e32 v24, s40, v20
	s_cmp_ge_u32 s0, s38
	v_pk_mul_f16 v89, v7, s44
	s_cselect_b32 s0, s1, s0
	v_pk_mul_f16 v90, v8, s44
	v_add_nc_u32_e32 v28, s40, v24
	v_pk_mul_f16 v94, v6, s44
	v_dual_add_nc_u32 v1, v0, v4 :: v_dual_bitop2_b32 v0, v0, v4 bitop3:0x54
	s_xor_b32 s0, s0, s37
	s_delay_alu instid0(VALU_DEP_3) | instskip(NEXT) | instid1(VALU_DEP_2)
	v_dual_add_nc_u32 v30, s40, v28 :: v_dual_ashrrev_i32 v29, 31, v28
	v_dual_ashrrev_i32 v25, 31, v24 :: v_dual_add_nc_u32 v4, 4, v1
	v_dual_add_nc_u32 v6, 20, v1 :: v_dual_add_nc_u32 v7, 24, v1
	s_delay_alu instid0(VALU_DEP_3) | instskip(NEXT) | instid1(VALU_DEP_3)
	v_dual_ashrrev_i32 v31, 31, v30 :: v_dual_add_nc_u32 v32, s40, v30
	v_mul_lo_u32 v38, v4, s30
	v_dual_add_nc_u32 v4, 12, v1 :: v_dual_add_nc_u32 v8, 28, v1
	v_lshlrev_b32_e32 v71, 1, v0
	s_delay_alu instid0(VALU_DEP_4)
	v_dual_ashrrev_i32 v33, 31, v32 :: v_dual_add_nc_u32 v34, s40, v32
	v_add_nc_u32_e32 v5, 8, v1
	s_sub_co_i32 s0, s0, s37
	v_mul_lo_u32 v36, v0, s30
	s_ashr_i32 s1, s0, 31
	v_ashrrev_i32_e32 v35, 31, v34
	v_mul_lo_u32 v40, v5, s30
	v_or_b32_e32 v5, 16, v0
	v_mul_lo_u32 v42, v4, s30
	ds_load_b32 v4, v65
	v_mul_lo_u32 v46, v6, s30
	v_mul_lo_u32 v48, v7, s30
	;; [unrolled: 1-line block ×4, first 2 shown]
	s_wait_kmcnt 0x0
	s_mul_u64 s[0:1], s[12:13], s[0:1]
	s_mul_i32 s12, s11, s48
	s_mul_u64 s[8:9], s[8:9], s[36:37]
	s_add_nc_u64 s[0:1], s[18:19], s[0:1]
	s_ashr_i32 s13, s12, 31
	s_lshl_b32 s38, s53, 1
	v_dual_ashrrev_i32 v17, 31, v16 :: v_dual_mov_b32 v15, v23
	s_mul_u64 s[28:29], s[28:29], s[36:37]
	s_add_nc_u64 s[8:9], s[16:17], s[8:9]
	s_add_nc_u64 s[0:1], s[0:1], s[12:13]
	s_cmp_lg_u64 s[18:19], 0
	s_add_nc_u64 s[14:15], s[14:15], s[28:29]
	s_add_nc_u64 s[4:5], s[8:9], s[4:5]
	;; [unrolled: 1-line block ×3, first 2 shown]
	s_mul_i32 s38, s30, s53
	s_cselect_b32 s11, -1, 0
	s_ashr_i32 s47, s46, 31
	s_add_nc_u64 s[0:1], s[14:15], s[6:7]
	s_add_nc_u64 s[42:43], s[4:5], s[38:39]
	s_mul_i32 s38, s40, s53
	v_add_nc_u64_e32 v[54:55], s[46:47], v[14:15]
	s_add_nc_u64 s[44:45], s[0:1], s[38:39]
	v_cmp_eq_u32_e64 s0, 0, v3
	v_dual_ashrrev_i32 v19, 31, v18 :: v_dual_ashrrev_i32 v21, 31, v20
	v_cmp_eq_u32_e64 s1, 1, v3
	v_cmp_eq_u32_e64 s4, 2, v3
	;; [unrolled: 1-line block ×7, first 2 shown]
	v_dual_ashrrev_i32 v37, 31, v36 :: v_dual_lshlrev_b32 v72, 1, v1
	v_dual_ashrrev_i32 v39, 31, v38 :: v_dual_ashrrev_i32 v41, 31, v40
	v_dual_ashrrev_i32 v43, 31, v42 :: v_dual_ashrrev_i32 v45, 31, v44
	;; [unrolled: 1-line block ×3, first 2 shown]
	v_dual_ashrrev_i32 v51, 31, v50 :: v_dual_mov_b32 v3, 0
	v_dual_lshlrev_b32 v52, 1, v2 :: v_dual_mov_b32 v2, 0
	v_dual_mov_b32 v1, 0 :: v_dual_mov_b32 v0, 0
	v_dual_mov_b32 v7, 0 :: v_dual_mov_b32 v6, 0
	;; [unrolled: 1-line block ×4, first 2 shown]
	v_mov_b32_e32 v57, v23
	v_mov_b32_e32 v15, 0xfeffffff
	v_mov_b32_e32 v73, 0xfeffffff
	s_add_nc_u64 s[18:19], s[2:3], 0xd0
	s_and_b32 s17, s11, s10
	s_and_b32 s31, s11, s50
.LBB9_11:                               ; =>This Inner Loop Header: Depth=1
	v_dual_lshlrev_b32 v22, 2, v67 :: v_dual_bitop2_b32 v53, 4, v69 bitop3:0x14
	v_mov_b32_e32 v74, v23
	s_delay_alu instid0(VALU_DEP_2) | instskip(SKIP_1) | instid1(VALU_DEP_1)
	v_add_nc_u64_e32 v[58:59], s[44:45], v[22:23]
	v_and_b32_e32 v22, 24, v69
	v_add_nc_u32_e32 v22, 8, v22
	s_delay_alu instid0(VALU_DEP_3) | instskip(NEXT) | instid1(VALU_DEP_2)
	v_add_nc_u64_e32 v[8:9], v[58:59], v[16:17]
	v_cmp_lt_i32_e32 vcc_lo, v53, v22
	global_load_b128 v[8:11], v[8:9], off
	s_wait_loadcnt 0x0
	;;#ASMSTART
	v_dot2_f32_f16 v74, v8, v93, v74
	;;#ASMEND
	v_cndmask_b32_e32 v53, v69, v53, vcc_lo
	;;#ASMSTART
	v_dot2_f32_f16 v74, v9, v94, v74
	;;#ASMEND
	;;#ASMSTART
	v_dot2_f32_f16 v74, v10, v95, v74
	;;#ASMEND
	;; [unrolled: 3-line block ×3, first 2 shown]
	s_delay_alu instid0(VALU_DEP_1) | instskip(SKIP_4) | instid1(VALU_DEP_1)
	v_lshlrev_b32_e32 v53, 2, v53
	ds_bpermute_b32 v60, v53, v74
	s_wait_dscnt 0x0
	v_dual_add_f32 v60, v74, v60 :: v_dual_bitop2_b32 v74, 1, v69 bitop3:0x14
	v_xor_b32_e32 v61, 2, v69
	v_cmp_lt_i32_e32 vcc_lo, v61, v22
	v_cndmask_b32_e32 v61, v69, v61, vcc_lo
	s_delay_alu instid0(VALU_DEP_4) | instskip(SKIP_2) | instid1(VALU_DEP_1)
	v_cmp_lt_i32_e32 vcc_lo, v74, v22
	v_cndmask_b32_e32 v22, v69, v74, vcc_lo
	s_and_b32 vcc_lo, exec_lo, s17
	v_dual_lshlrev_b32 v84, 2, v22 :: v_dual_lshlrev_b32 v82, 2, v61
	ds_bpermute_b32 v61, v82, v60
	s_wait_dscnt 0x0
	v_add_f32_e32 v22, v60, v61
	ds_bpermute_b32 v60, v84, v22
	s_wait_dscnt 0x0
	v_add_f32_e32 v22, v22, v60
	s_cbranch_vccz .LBB9_13
; %bb.12:                               ;   in Loop: Header=BB9_11 Depth=1
	global_load_u16 v60, v14, s[28:29] scale_offset
	s_wait_loadcnt 0x0
	v_fma_mix_f32 v22, v70, v60, v22 op_sel_hi:[0,1,0]
.LBB9_13:                               ;   in Loop: Header=BB9_11 Depth=1
	v_mov_b32_e32 v60, v23
	;;#ASMSTART
	v_dot2_f32_f16 v60, v8, v89, v60
	;;#ASMEND
	;;#ASMSTART
	v_dot2_f32_f16 v60, v9, v90, v60
	;;#ASMEND
	;; [unrolled: 3-line block ×4, first 2 shown]
	ds_bpermute_b32 v8, v53, v60
	s_and_not1_b32 vcc_lo, exec_lo, s31
	s_wait_dscnt 0x0
	v_add_f32_e32 v8, v60, v8
	ds_bpermute_b32 v9, v82, v8
	s_wait_dscnt 0x0
	v_add_f32_e32 v8, v8, v9
	ds_bpermute_b32 v9, v84, v8
	s_wait_dscnt 0x0
	v_add_f32_e32 v74, v8, v9
	s_cbranch_vccnz .LBB9_15
; %bb.14:                               ;   in Loop: Header=BB9_11 Depth=1
	v_lshl_add_u64 v[8:9], v[26:27], 1, s[28:29]
	global_load_u16 v8, v[8:9], off
	s_wait_loadcnt 0x0
	v_fma_mix_f32 v74, v70, v8, v74 op_sel_hi:[0,1,0]
.LBB9_15:                               ;   in Loop: Header=BB9_11 Depth=1
	v_add_nc_u64_e32 v[8:9], v[58:59], v[18:19]
	v_mov_b32_e32 v61, v23
	s_and_not1_b32 vcc_lo, exec_lo, s17
	global_load_b128 v[8:11], v[8:9], off
	s_wait_loadcnt 0x0
	;;#ASMSTART
	v_dot2_f32_f16 v61, v8, v93, v61
	;;#ASMEND
	;;#ASMSTART
	v_dot2_f32_f16 v61, v9, v94, v61
	;;#ASMEND
	;; [unrolled: 3-line block ×4, first 2 shown]
	ds_bpermute_b32 v60, v53, v61
	s_wait_dscnt 0x0
	v_add_f32_e32 v60, v61, v60
	ds_bpermute_b32 v61, v82, v60
	s_wait_dscnt 0x0
	v_add_f32_e32 v60, v60, v61
	;; [unrolled: 3-line block ×3, first 2 shown]
	s_cbranch_vccnz .LBB9_17
; %bb.16:                               ;   in Loop: Header=BB9_11 Depth=1
	global_load_u16 v60, v14, s[28:29] offset:2 scale_offset
	s_wait_loadcnt 0x0
	v_fma_mix_f32 v75, v70, v60, v75 op_sel_hi:[0,1,0]
.LBB9_17:                               ;   in Loop: Header=BB9_11 Depth=1
	v_mov_b32_e32 v60, v23
	;;#ASMSTART
	v_dot2_f32_f16 v60, v8, v89, v60
	;;#ASMEND
	;;#ASMSTART
	v_dot2_f32_f16 v60, v9, v90, v60
	;;#ASMEND
	;; [unrolled: 3-line block ×4, first 2 shown]
	ds_bpermute_b32 v8, v53, v60
	s_and_not1_b32 vcc_lo, exec_lo, s31
	s_wait_dscnt 0x0
	v_add_f32_e32 v8, v60, v8
	v_lshl_add_u64 v[60:61], v[54:55], 1, s[28:29]
	ds_bpermute_b32 v9, v82, v8
	s_wait_dscnt 0x0
	v_add_f32_e32 v8, v8, v9
	ds_bpermute_b32 v9, v84, v8
	s_wait_dscnt 0x0
	v_add_f32_e32 v76, v8, v9
	s_cbranch_vccnz .LBB9_19
; %bb.18:                               ;   in Loop: Header=BB9_11 Depth=1
	global_load_u16 v8, v[60:61], off offset:2
	s_wait_loadcnt 0x0
	v_fma_mix_f32 v76, v70, v8, v76 op_sel_hi:[0,1,0]
.LBB9_19:                               ;   in Loop: Header=BB9_11 Depth=1
	v_add_nc_u64_e32 v[8:9], v[58:59], v[20:21]
	v_mov_b32_e32 v78, v23
	s_and_not1_b32 vcc_lo, exec_lo, s17
	global_load_b128 v[8:11], v[8:9], off
	s_wait_loadcnt 0x0
	;;#ASMSTART
	v_dot2_f32_f16 v78, v8, v93, v78
	;;#ASMEND
	;;#ASMSTART
	v_dot2_f32_f16 v78, v9, v94, v78
	;;#ASMEND
	;;#ASMSTART
	v_dot2_f32_f16 v78, v10, v95, v78
	;;#ASMEND
	;;#ASMSTART
	v_dot2_f32_f16 v78, v11, v96, v78
	;;#ASMEND
	ds_bpermute_b32 v77, v53, v78
	s_wait_dscnt 0x0
	v_add_f32_e32 v77, v78, v77
	ds_bpermute_b32 v78, v82, v77
	s_wait_dscnt 0x0
	v_add_f32_e32 v77, v77, v78
	ds_bpermute_b32 v78, v84, v77
	s_wait_dscnt 0x0
	v_add_f32_e32 v77, v77, v78
	s_cbranch_vccnz .LBB9_21
; %bb.20:                               ;   in Loop: Header=BB9_11 Depth=1
	global_load_u16 v78, v14, s[28:29] offset:4 scale_offset
	s_wait_loadcnt 0x0
	v_fma_mix_f32 v77, v70, v78, v77 op_sel_hi:[0,1,0]
.LBB9_21:                               ;   in Loop: Header=BB9_11 Depth=1
	v_mov_b32_e32 v78, v23
	;;#ASMSTART
	v_dot2_f32_f16 v78, v8, v89, v78
	;;#ASMEND
	;;#ASMSTART
	v_dot2_f32_f16 v78, v9, v90, v78
	;;#ASMEND
	;;#ASMSTART
	v_dot2_f32_f16 v78, v10, v91, v78
	;;#ASMEND
	;;#ASMSTART
	v_dot2_f32_f16 v78, v11, v92, v78
	;;#ASMEND
	ds_bpermute_b32 v8, v53, v78
	s_and_not1_b32 vcc_lo, exec_lo, s31
	s_wait_dscnt 0x0
	v_add_f32_e32 v8, v78, v8
	ds_bpermute_b32 v9, v82, v8
	s_wait_dscnt 0x0
	v_add_f32_e32 v8, v8, v9
	ds_bpermute_b32 v9, v84, v8
	s_wait_dscnt 0x0
	v_add_f32_e32 v78, v8, v9
	s_cbranch_vccnz .LBB9_23
; %bb.22:                               ;   in Loop: Header=BB9_11 Depth=1
	global_load_u16 v8, v[60:61], off offset:4
	s_wait_loadcnt 0x0
	v_fma_mix_f32 v78, v70, v8, v78 op_sel_hi:[0,1,0]
.LBB9_23:                               ;   in Loop: Header=BB9_11 Depth=1
	v_add_nc_u64_e32 v[8:9], v[58:59], v[24:25]
	v_mov_b32_e32 v80, v23
	s_and_not1_b32 vcc_lo, exec_lo, s17
	global_load_b128 v[8:11], v[8:9], off
	s_wait_loadcnt 0x0
	;;#ASMSTART
	v_dot2_f32_f16 v80, v8, v93, v80
	;;#ASMEND
	;;#ASMSTART
	v_dot2_f32_f16 v80, v9, v94, v80
	;;#ASMEND
	;;#ASMSTART
	v_dot2_f32_f16 v80, v10, v95, v80
	;;#ASMEND
	;;#ASMSTART
	v_dot2_f32_f16 v80, v11, v96, v80
	;;#ASMEND
	ds_bpermute_b32 v79, v53, v80
	s_wait_dscnt 0x0
	v_add_f32_e32 v79, v80, v79
	ds_bpermute_b32 v80, v82, v79
	s_wait_dscnt 0x0
	v_add_f32_e32 v79, v79, v80
	ds_bpermute_b32 v80, v84, v79
	s_wait_dscnt 0x0
	v_add_f32_e32 v79, v79, v80
	s_cbranch_vccnz .LBB9_25
; %bb.24:                               ;   in Loop: Header=BB9_11 Depth=1
	global_load_u16 v80, v14, s[28:29] offset:6 scale_offset
	s_wait_loadcnt 0x0
	v_fma_mix_f32 v79, v70, v80, v79 op_sel_hi:[0,1,0]
.LBB9_25:                               ;   in Loop: Header=BB9_11 Depth=1
	v_mov_b32_e32 v80, v23
	;;#ASMSTART
	v_dot2_f32_f16 v80, v8, v89, v80
	;;#ASMEND
	;;#ASMSTART
	v_dot2_f32_f16 v80, v9, v90, v80
	;;#ASMEND
	;;#ASMSTART
	v_dot2_f32_f16 v80, v10, v91, v80
	;;#ASMEND
	;;#ASMSTART
	v_dot2_f32_f16 v80, v11, v92, v80
	;;#ASMEND
	ds_bpermute_b32 v8, v53, v80
	s_and_not1_b32 vcc_lo, exec_lo, s31
	s_wait_dscnt 0x0
	v_add_f32_e32 v8, v80, v8
	;; [unrolled: 61-line block ×6, first 2 shown]
	ds_bpermute_b32 v9, v82, v8
	s_wait_dscnt 0x0
	v_add_f32_e32 v8, v8, v9
	ds_bpermute_b32 v9, v84, v8
	s_wait_dscnt 0x0
	v_add_f32_e32 v10, v8, v9
	s_cbranch_vccnz .LBB9_43
; %bb.42:                               ;   in Loop: Header=BB9_11 Depth=1
	global_load_u16 v8, v[60:61], off offset:14
	s_wait_loadcnt 0x0
	v_fma_mix_f32 v10, v70, v8, v10 op_sel_hi:[0,1,0]
.LBB9_43:                               ;   in Loop: Header=BB9_11 Depth=1
	v_mov_b32_e32 v53, v23
	v_dual_add_f32 v11, 0x40051340, v77 :: v_dual_add_f32 v82, 0x40051340, v74
	v_xor_b32_e32 v131, 8, v69
	v_dual_add_f32 v59, 0x40051340, v81 :: v_dual_add_f32 v130, 0x40051340, v78
	s_delay_alu instid0(VALU_DEP_4) | instskip(SKIP_1) | instid1(VALU_DEP_4)
	v_add_nc_u64_e32 v[8:9], s[42:43], v[52:53]
	v_dual_add_f32 v53, 0x40051340, v79 :: v_dual_add_f32 v84, 0x40051340, v76
	v_cmp_gt_i32_e32 vcc_lo, 32, v131
	v_add_f32_e32 v97, 0x40051340, v58
	s_load_b32 s10, s[18:19], 0x4
	s_mov_b32 s47, s39
	s_delay_alu instid0(VALU_DEP_4)
	v_add_nc_u64_e32 v[60:61], v[8:9], v[36:37]
	v_max3_num_f32 v82, v73, v82, v84
	v_add_f32_e32 v84, 0x40051340, v83
	global_load_b128 v[98:101], v[60:61], off
	s_wait_xcnt 0x0
	v_add_nc_u64_e32 v[60:61], v[8:9], v[38:39]
	global_load_b128 v[102:105], v[60:61], off
	s_wait_xcnt 0x0
	v_add_nc_u64_e32 v[60:61], v[8:9], v[40:41]
	s_wait_kmcnt 0x0
	s_lshl_b32 s46, s10, 7
	s_delay_alu instid0(SALU_CYCLE_1)
	s_mul_i32 s38, s46, s40
	s_add_co_i32 s53, s46, s53
	s_add_nc_u64 s[44:45], s[44:45], s[38:39]
	global_load_b128 v[106:109], v[60:61], off
	s_wait_xcnt 0x0
	v_add_nc_u64_e32 v[60:61], v[8:9], v[42:43]
	s_mul_i32 s38, s46, s30
	s_delay_alu instid0(SALU_CYCLE_1)
	s_add_nc_u64 s[42:43], s[42:43], s[38:39]
	global_load_b128 v[110:113], v[60:61], off
	s_wait_xcnt 0x0
	v_add_nc_u64_e32 v[60:61], v[8:9], v[44:45]
	global_load_b128 v[114:117], v[60:61], off
	s_wait_xcnt 0x0
	v_add_nc_u64_e32 v[60:61], v[8:9], v[46:47]
	;; [unrolled: 3-line block ×3, first 2 shown]
	v_add_nc_u64_e32 v[8:9], v[8:9], v[50:51]
	s_clause 0x1
	global_load_b128 v[122:125], v[60:61], off
	global_load_b128 v[126:129], v[8:9], off
	s_wait_xcnt 0x0
	v_dual_add_f32 v8, 0x40051340, v22 :: v_dual_add_f32 v9, 0x40051340, v75
	v_dual_add_f32 v60, 0x40051340, v85 :: v_dual_add_f32 v61, 0x40051340, v87
	v_cndmask_b32_e64 v22, v56, v22, s0
	v_cndmask_b32_e64 v56, v57, v74, s0
	s_delay_alu instid0(VALU_DEP_4) | instskip(SKIP_1) | instid1(VALU_DEP_2)
	v_max3_num_f32 v8, v15, v8, v9
	v_add_f32_e32 v9, 0x40051340, v80
	v_max3_num_f32 v8, v8, v11, v53
	v_add_f32_e32 v11, 0x40051340, v86
	s_delay_alu instid0(VALU_DEP_3) | instskip(SKIP_1) | instid1(VALU_DEP_4)
	v_max3_num_f32 v9, v82, v130, v9
	v_dual_add_f32 v53, 0x40051340, v88 :: v_dual_cndmask_b32 v82, v69, v131
	v_max3_num_f32 v8, v8, v59, v60
	v_add_f32_e32 v59, 0x40051340, v10
	s_delay_alu instid0(VALU_DEP_4) | instskip(NEXT) | instid1(VALU_DEP_4)
	v_max3_num_f32 v9, v9, v84, v11
	v_lshlrev_b32_e32 v11, 2, v82
	s_delay_alu instid0(VALU_DEP_4) | instskip(NEXT) | instid1(VALU_DEP_3)
	v_max3_num_f32 v8, v8, v61, v97
	v_max3_num_f32 v9, v9, v53, v59
	v_xor_b32_e32 v59, 16, v69
	ds_bpermute_b32 v53, v11, v8
	ds_bpermute_b32 v11, v11, v9
	v_cmp_gt_i32_e32 vcc_lo, 32, v59
	v_cndmask_b32_e32 v59, v69, v59, vcc_lo
	s_wait_dscnt 0x0
	v_dual_max_num_f32 v53, v53, v53 :: v_dual_max_num_f32 v11, v11, v11
	s_delay_alu instid0(VALU_DEP_1) | instskip(NEXT) | instid1(VALU_DEP_3)
	v_dual_max_num_f32 v8, v8, v53 :: v_dual_max_num_f32 v9, v9, v11
	v_dual_cndmask_b32 v11, v56, v76, s1 :: v_dual_lshlrev_b32 v57, 2, v59
	s_delay_alu instid0(VALU_DEP_1) | instskip(SKIP_4) | instid1(VALU_DEP_1)
	v_dual_cndmask_b32 v22, v22, v75, s1 :: v_dual_cndmask_b32 v11, v11, v78, s4
	ds_bpermute_b32 v53, v57, v8
	v_cndmask_b32_e64 v22, v22, v77, s4
	ds_bpermute_b32 v56, v57, v9
	v_dual_cndmask_b32 v11, v11, v80, s5 :: v_dual_cndmask_b32 v22, v22, v79, s5
	v_dual_cndmask_b32 v11, v11, v83, s6 :: v_dual_cndmask_b32 v22, v22, v81, s6
	s_delay_alu instid0(VALU_DEP_1) | instskip(SKIP_1) | instid1(VALU_DEP_1)
	v_dual_cndmask_b32 v11, v11, v86, s7 :: v_dual_cndmask_b32 v22, v22, v85, s7
	s_wait_dscnt 0x1
	v_dual_max_num_f32 v53, v53, v53 :: v_dual_cndmask_b32 v22, v22, v87, s8
	s_wait_dscnt 0x0
	v_max_num_f32_e32 v56, v56, v56
	s_delay_alu instid0(VALU_DEP_2) | instskip(NEXT) | instid1(VALU_DEP_2)
	v_dual_cndmask_b32 v11, v11, v88, s8 :: v_dual_max_num_f32 v8, v8, v53
	v_dual_cndmask_b32 v22, v22, v58, s9 :: v_dual_max_num_f32 v9, v9, v56
	s_delay_alu instid0(VALU_DEP_2) | instskip(NEXT) | instid1(VALU_DEP_2)
	v_cndmask_b32_e64 v10, v11, v10, s9
	v_dual_sub_f32 v11, v15, v8 :: v_dual_sub_f32 v15, v22, v8
	s_delay_alu instid0(VALU_DEP_2) | instskip(NEXT) | instid1(VALU_DEP_2)
	v_dual_sub_f32 v22, v73, v9 :: v_dual_sub_f32 v10, v10, v9
	v_mul_f32_e32 v53, 0x3fb8aa3b, v11
	s_delay_alu instid0(VALU_DEP_2) | instskip(SKIP_2) | instid1(VALU_DEP_4)
	v_dual_mul_f32 v56, 0x3fb8aa3b, v15 :: v_dual_mul_f32 v57, 0x3fb8aa3b, v22
	v_cmp_ngt_f32_e32 vcc_lo, 0xc2ce8ed0, v11
	v_cmp_ngt_f32_e64 s10, 0xc2ce8ed0, v15
	v_fma_f32 v59, 0x3fb8aa3b, v11, -v53
	v_rndne_f32_e32 v60, v53
	v_mul_f32_e32 v58, 0x3fb8aa3b, v10
	v_fma_f32 v61, 0x3fb8aa3b, v15, -v56
	v_rndne_f32_e32 v73, v56
	v_cmp_nlt_f32_e64 s13, 0x42b17218, v11
	v_cmp_nlt_f32_e64 s14, 0x42b17218, v15
	v_fma_f32 v74, 0x3fb8aa3b, v22, -v57
	v_rndne_f32_e32 v75, v57
	v_fmac_f32_e32 v59, 0x32a5705f, v11
	v_sub_f32_e32 v11, v53, v60
	v_fma_f32 v76, 0x3fb8aa3b, v10, -v58
	v_rndne_f32_e32 v77, v58
	v_fmac_f32_e32 v61, 0x32a5705f, v15
	v_dual_sub_f32 v15, v56, v73 :: v_dual_sub_f32 v56, v57, v75
	v_fmac_f32_e32 v74, 0x32a5705f, v22
	s_delay_alu instid0(VALU_DEP_4) | instskip(SKIP_1) | instid1(VALU_DEP_4)
	v_dual_fmac_f32 v76, 0x32a5705f, v10 :: v_dual_sub_f32 v53, v58, v77
	v_add_f32_e32 v11, v11, v59
	v_add_f32_e32 v15, v15, v61
	v_cvt_i32_f32_e32 v57, v60
	v_cvt_i32_f32_e32 v58, v73
	v_add_f32_e32 v53, v53, v76
	v_exp_f32_e32 v11, v11
	v_exp_f32_e32 v15, v15
	v_cmp_ngt_f32_e64 s12, 0xc2ce8ed0, v10
	v_cmp_nlt_f32_e64 s15, 0x42b17218, v10
	v_exp_f32_e32 v53, v53
	v_cvt_i32_f32_e32 v59, v77
	v_cvt_i32_f32_e32 v60, v75
	v_ldexp_f32 v10, v11, v57
	v_ldexp_f32 v11, v15, v58
	v_add_f32_e32 v56, v56, v74
	v_cmp_ngt_f32_e64 s11, 0xc2ce8ed0, v22
	v_ldexp_f32 v15, v53, v59
	v_cmp_nlt_f32_e64 s16, 0x42b17218, v22
	v_cndmask_b32_e64 v11, 0, v11, s10
	v_exp_f32_e32 v56, v56
	s_delay_alu instid0(VALU_DEP_3) | instskip(NEXT) | instid1(VALU_DEP_1)
	v_dual_cndmask_b32 v10, 0, v10, vcc_lo :: v_dual_cndmask_b32 v15, 0, v15, s12
	v_cndmask_b32_e64 v10, 0x7f800000, v10, s13
	s_delay_alu instid0(TRANS32_DEP_1) | instskip(SKIP_1) | instid1(VALU_DEP_4)
	v_ldexp_f32 v53, v56, v60
	v_cndmask_b32_e64 v56, 0x7f800000, v11, s14
	v_cndmask_b32_e64 v57, 0x7f800000, v15, s15
	s_delay_alu instid0(VALU_DEP_4) | instskip(NEXT) | instid1(VALU_DEP_4)
	v_cvt_f16_f32_e32 v15, v10
	v_cndmask_b32_e64 v22, 0, v53, s11
	s_lshl_b64 s[10:11], s[46:47], 1
	s_delay_alu instid0(VALU_DEP_3)
	v_cvt_f16_f32_e32 v53, v57
	s_cmp_ge_i32 s53, s52
	s_add_nc_u64 s[28:29], s[28:29], s[10:11]
	v_cndmask_b32_e64 v11, 0x7f800000, v22, s16
	v_cvt_f16_f32_e32 v22, v56
	ds_store_b16 v64, v22
	ds_store_b16 v64, v53 offset:256
	v_cvt_f16_f32_e32 v58, v11
	v_pk_fma_f32 v[12:13], v[12:13], v[10:11], v[56:57]
	v_and_b32_e32 v10, 0xffff, v15
	s_delay_alu instid0(VALU_DEP_3)
	v_and_b32_e32 v11, 0xffff, v58
	ds_load_u16 v15, v71
	ds_load_u16 v22, v71 offset:32
	ds_load_u16 v53, v71 offset:256
	;; [unrolled: 1-line block ×12, first 2 shown]
	v_mul_u32_u24_e32 v10, 0x10001, v10
	ds_load_u16 v79, v72 offset:296
	ds_load_u16 v80, v72 offset:304
	ds_load_u16 v81, v72 offset:312
	v_mul_u32_u24_e32 v11, 0x10001, v11
	v_pk_mul_f16 v4, v4, v10
	v_pk_mul_f16 v5, v5, v10
	;; [unrolled: 1-line block ×8, first 2 shown]
	s_wait_dscnt 0xf
	v_mul_u32_u24_e32 v10, 0x10001, v15
	s_wait_dscnt 0xd
	v_mul_u32_u24_e32 v11, 0x10001, v53
	;; [unrolled: 2-line block ×4, first 2 shown]
	v_mul_u32_u24_e32 v58, 0x10001, v59
	s_wait_dscnt 0x5
	v_mul_u32_u24_e32 v59, 0x10001, v76
	v_mul_u32_u24_e32 v60, 0x10001, v60
	s_wait_dscnt 0x3
	v_mul_u32_u24_e32 v74, 0x10001, v78
	v_mul_u32_u24_e32 v22, 0x10001, v22
	;; [unrolled: 1-line block ×4, first 2 shown]
	s_wait_dscnt 0x2
	v_mul_u32_u24_e32 v76, 0x10001, v79
	v_mul_u32_u24_e32 v75, 0x10001, v75
	s_wait_dscnt 0x1
	v_mul_u32_u24_e32 v78, 0x10001, v80
	v_mul_u32_u24_e32 v77, 0x10001, v77
	s_wait_dscnt 0x0
	v_mul_u32_u24_e32 v79, 0x10001, v81
	s_wait_loadcnt 0x7
	v_pk_fma_f16 v4, v98, v10, v4
	v_pk_fma_f16 v0, v98, v11, v0
	v_pk_fma_f16 v5, v99, v10, v5
	v_pk_fma_f16 v1, v99, v11, v1
	v_pk_fma_f16 v6, v100, v10, v6
	v_pk_fma_f16 v2, v100, v11, v2
	v_pk_fma_f16 v7, v101, v10, v7
	v_pk_fma_f16 v3, v101, v11, v3
	s_wait_loadcnt 0x6
	v_pk_fma_f16 v4, v102, v15, v4
	v_pk_fma_f16 v0, v102, v53, v0
	v_pk_fma_f16 v5, v103, v15, v5
	v_pk_fma_f16 v1, v103, v53, v1
	v_pk_fma_f16 v6, v104, v15, v6
	v_pk_fma_f16 v2, v104, v53, v2
	v_pk_fma_f16 v7, v105, v15, v7
	v_pk_fma_f16 v3, v105, v53, v3
	;; [unrolled: 9-line block ×8, first 2 shown]
	s_cbranch_scc1 .LBB9_46
; %bb.44:                               ;   in Loop: Header=BB9_11 Depth=1
	v_dual_mov_b32 v15, v8 :: v_dual_mov_b32 v73, v9
	s_branch .LBB9_11
.LBB9_45:
	v_mov_b32_e32 v13, 0
	v_mov_b64_e32 v[8:9], 0xfefffffffeffffff
	s_delay_alu instid0(VALU_DEP_2)
	v_mov_b32_e32 v12, v13
	s_branch .LBB9_47
.LBB9_46:
	ds_store_b128 v65, v[4:7]
	ds_store_b128 v65, v[0:3] offset:16
.LBB9_47:
	s_cmp_lg_u64 s[20:21], 0
	v_cmp_gt_u32_e32 vcc_lo, 2, v66
	s_cselect_b32 s0, -1, 0
	s_cmp_eq_u32 s49, 0
	s_cselect_b32 s1, -1, 0
	s_delay_alu instid0(SALU_CYCLE_1) | instskip(NEXT) | instid1(SALU_CYCLE_1)
	s_and_b32 s0, s1, s0
	s_and_b32 s0, s0, vcc_lo
	s_delay_alu instid0(SALU_CYCLE_1)
	s_and_saveexec_b32 s1, s0
	s_cbranch_execz .LBB9_49
; %bb.48:
	v_cmp_eq_u32_e32 vcc_lo, 1, v66
	v_dual_mov_b32 v0, s33 :: v_dual_cndmask_b32 v1, v8, v9
	global_load_b32 v0, v0, s[20:21] scale_offset
	s_wait_loadcnt 0x0
	v_dual_max_num_f32 v2, v1, v1 :: v_dual_max_num_f32 v3, v0, v0
	s_delay_alu instid0(VALU_DEP_1) | instskip(NEXT) | instid1(VALU_DEP_1)
	v_max_num_f32_e32 v4, v3, v2
	v_dual_sub_f32 v5, v1, v4 :: v_dual_sub_f32 v6, v0, v4
	s_delay_alu instid0(VALU_DEP_1) | instskip(SKIP_1) | instid1(VALU_DEP_2)
	v_dual_mul_f32 v0, 0x3fb8aa3b, v5 :: v_dual_mul_f32 v1, 0x3fb8aa3b, v6
	v_cmp_ngt_f32_e64 s0, 0xc2ce8ed0, v5
	v_fma_f32 v2, 0x3fb8aa3b, v5, -v0
	v_rndne_f32_e32 v3, v0
	s_delay_alu instid0(VALU_DEP_4) | instskip(SKIP_1) | instid1(VALU_DEP_4)
	v_fma_f32 v7, 0x3fb8aa3b, v6, -v1
	v_rndne_f32_e32 v10, v1
	v_fmac_f32_e32 v2, 0x32a5705f, v5
	s_delay_alu instid0(VALU_DEP_3) | instskip(NEXT) | instid1(VALU_DEP_1)
	v_dual_sub_f32 v0, v0, v3 :: v_dual_fmac_f32 v7, 0x32a5705f, v6
	v_dual_cndmask_b32 v9, v9, v4 :: v_dual_add_f32 v0, v0, v2
	v_cvt_i32_f32_e32 v2, v3
	v_cvt_i32_f32_e32 v3, v10
	s_delay_alu instid0(VALU_DEP_3) | instskip(SKIP_1) | instid1(TRANS32_DEP_1)
	v_exp_f32_e32 v0, v0
	v_nop
	v_ldexp_f32 v0, v0, v2
	s_delay_alu instid0(VALU_DEP_1) | instskip(NEXT) | instid1(VALU_DEP_1)
	v_dual_sub_f32 v1, v1, v10 :: v_dual_cndmask_b32 v11, 0, v0, s0
	v_add_f32_e32 v1, v1, v7
	v_cmp_ngt_f32_e64 s0, 0xc2ce8ed0, v6
	v_lshl_add_u32 v7, v66, 4, v65
	s_delay_alu instid0(VALU_DEP_3) | instskip(SKIP_1) | instid1(TRANS32_DEP_1)
	v_exp_f32_e32 v1, v1
	v_nop
	v_ldexp_f32 v10, v1, v3
	ds_load_b128 v[0:3], v7
	v_cndmask_b32_e64 v10, 0, v10, s0
	v_cmp_nlt_f32_e64 s0, 0x42b17218, v5
	s_delay_alu instid0(VALU_DEP_1) | instskip(SKIP_2) | instid1(VALU_DEP_2)
	v_cndmask_b32_e64 v5, 0x7f800000, v11, s0
	v_cmp_nlt_f32_e64 s0, 0x42b17218, v6
	v_cndmask_b32_e32 v11, v12, v13, vcc_lo
	v_cndmask_b32_e64 v6, 0x7f800000, v10, s0
	s_delay_alu instid0(VALU_DEP_4) | instskip(SKIP_1) | instid1(VALU_DEP_2)
	v_cvt_f16_f32_e32 v10, v5
	v_cmp_eq_u32_e64 s0, 0, v62
	v_and_b32_e32 v10, 0xffff, v10
	s_delay_alu instid0(VALU_DEP_2) | instskip(SKIP_1) | instid1(VALU_DEP_1)
	v_cndmask_b32_e64 v6, 0, v6, s0
	v_cmp_eq_u32_e64 s0, 0, v66
	v_dual_fmac_f32 v6, v11, v5 :: v_dual_cndmask_b32 v8, v8, v4, s0
	s_delay_alu instid0(VALU_DEP_4) | instskip(NEXT) | instid1(VALU_DEP_2)
	v_mul_u32_u24_e32 v5, 0x10001, v10
	v_dual_cndmask_b32 v13, v13, v6, vcc_lo :: v_dual_cndmask_b32 v12, v12, v6, s0
	s_wait_dscnt 0x0
	s_delay_alu instid0(VALU_DEP_2)
	v_pk_mul_f16 v0, v0, v5
	v_pk_mul_f16 v1, v1, v5
	;; [unrolled: 1-line block ×4, first 2 shown]
	ds_store_b128 v7, v[0:3]
.LBB9_49:
	s_or_b32 exec_lo, exec_lo, s1
	v_add_nc_u32_e32 v2, 0x900, v68
	v_add_nc_u32_e32 v10, 0x800, v68
	s_mov_b32 s0, exec_lo
	v_cmpx_eq_u32_e32 0, v66
	s_cbranch_execz .LBB9_51
; %bb.50:
	v_dual_mov_b32 v0, 0xfeffffff :: v_dual_mov_b32 v1, 0
	ds_store_2addr_b32 v10, v0, v0 offset1:32
	ds_store_2addr_b32 v2, v1, v1 offset1:32
.LBB9_51:
	s_or_b32 exec_lo, exec_lo, s0
	v_cmp_eq_u32_e64 s0, 0, v62
	s_wait_dscnt 0x0
	s_barrier_signal -1
	s_barrier_wait -1
	s_and_saveexec_b32 s1, s0
; %bb.52:
	v_lshlrev_b32_e32 v0, 2, v66
	s_delay_alu instid0(VALU_DEP_1)
	v_add_nc_u32_e32 v0, 0x800, v0
	ds_store_2addr_b32 v0, v8, v9 offset1:32
; %bb.53:
	s_or_b32 exec_lo, exec_lo, s1
	s_delay_alu instid0(SALU_CYCLE_1)
	s_and_not1_b32 vcc_lo, exec_lo, s51
	s_wait_dscnt 0x0
	s_barrier_signal -1
	s_barrier_wait -1
	s_cbranch_vccnz .LBB9_56
; %bb.54:
	s_add_nc_u64 s[2:3], s[2:3], 0xd0
	s_cbranch_execz .LBB9_57
; %bb.55:
	s_mov_b64 s[22:23], s[2:3]
	s_branch .LBB9_69
.LBB9_56:
                                        ; implicit-def: $sgpr2_sgpr3
.LBB9_57:
	ds_load_b32 v0, v10
	v_xor_b32_e32 v6, 1, v69
	v_xor_b32_e32 v4, 4, v69
	;; [unrolled: 1-line block ×5, first 2 shown]
	s_delay_alu instid0(VALU_DEP_2) | instskip(SKIP_2) | instid1(VALU_DEP_2)
	v_cmp_gt_i32_e32 vcc_lo, 32, v1
	v_cndmask_b32_e32 v1, v69, v1, vcc_lo
	v_cmp_gt_i32_e32 vcc_lo, 32, v3
	v_dual_lshlrev_b32 v7, 2, v1 :: v_dual_cndmask_b32 v3, v69, v3, vcc_lo
	v_cmp_gt_i32_e32 vcc_lo, 32, v4
	s_wait_dscnt 0x0
	ds_bpermute_b32 v1, v7, v0
	v_max_num_f32_e32 v0, v0, v0
	v_cndmask_b32_e32 v4, v69, v4, vcc_lo
	v_cmp_gt_i32_e32 vcc_lo, 32, v5
	s_delay_alu instid0(VALU_DEP_2) | instskip(SKIP_1) | instid1(VALU_DEP_2)
	v_dual_cndmask_b32 v5, v69, v5 :: v_dual_lshlrev_b32 v4, 2, v4
	v_cmp_gt_i32_e32 vcc_lo, 32, v6
	v_dual_cndmask_b32 v6, v69, v6 :: v_dual_lshlrev_b32 v5, 2, v5
	s_wait_dscnt 0x0
	s_delay_alu instid0(VALU_DEP_1) | instskip(NEXT) | instid1(VALU_DEP_1)
	v_dual_max_num_f32 v1, v1, v1 :: v_dual_lshlrev_b32 v6, 2, v6
	v_dual_max_num_f32 v0, v0, v1 :: v_dual_lshlrev_b32 v3, 2, v3
	ds_bpermute_b32 v1, v3, v0
	s_wait_dscnt 0x0
	v_max_num_f32_e32 v1, v1, v1
	s_delay_alu instid0(VALU_DEP_1) | instskip(SKIP_3) | instid1(VALU_DEP_1)
	v_max_num_f32_e32 v0, v0, v1
	ds_bpermute_b32 v1, v4, v0
	s_wait_dscnt 0x0
	v_max_num_f32_e32 v1, v1, v1
	v_max_num_f32_e32 v0, v0, v1
	ds_bpermute_b32 v1, v5, v0
	s_wait_dscnt 0x0
	v_max_num_f32_e32 v1, v1, v1
	s_delay_alu instid0(VALU_DEP_1) | instskip(SKIP_3) | instid1(VALU_DEP_1)
	v_max_num_f32_e32 v0, v0, v1
	ds_bpermute_b32 v1, v6, v0
	s_wait_dscnt 0x0
	v_max_num_f32_e32 v1, v1, v1
	v_max_num_f32_e32 v0, v0, v1
	s_delay_alu instid0(VALU_DEP_1) | instskip(NEXT) | instid1(VALU_DEP_1)
	v_sub_f32_e32 v1, v8, v0
	v_mul_f32_e32 v8, 0x3fb8aa3b, v1
	v_cmp_ngt_f32_e32 vcc_lo, 0xc2ce8ed0, v1
	s_delay_alu instid0(VALU_DEP_2) | instskip(SKIP_1) | instid1(VALU_DEP_1)
	v_fma_f32 v11, 0x3fb8aa3b, v1, -v8
	v_rndne_f32_e32 v14, v8
	v_dual_fmamk_f32 v11, v1, 0x32a5705f, v11 :: v_dual_sub_f32 v8, v8, v14
	s_delay_alu instid0(VALU_DEP_1) | instskip(SKIP_4) | instid1(TRANS32_DEP_1)
	v_add_f32_e32 v8, v8, v11
	v_cvt_i32_f32_e32 v11, v14
	ds_load_b128 v[14:17], v65
	v_exp_f32_e32 v8, v8
	v_nop
	v_ldexp_f32 v8, v8, v11
	s_delay_alu instid0(VALU_DEP_1) | instskip(SKIP_1) | instid1(VALU_DEP_2)
	v_cndmask_b32_e32 v8, 0, v8, vcc_lo
	v_cmp_nlt_f32_e32 vcc_lo, 0x42b17218, v1
	v_cndmask_b32_e32 v1, 0x7f800000, v8, vcc_lo
	s_delay_alu instid0(VALU_DEP_1)
	v_mul_f32_e32 v8, v12, v1
	ds_bpermute_b32 v8, v7, v8
	s_wait_dscnt 0x0
	v_fmac_f32_e32 v8, v12, v1
	ds_bpermute_b32 v11, v3, v8
	s_wait_dscnt 0x0
	v_add_f32_e32 v8, v8, v11
	v_cvt_f16_f32_e32 v1, v1
	ds_bpermute_b32 v11, v4, v8
	v_and_b32_e32 v1, 0xffff, v1
	s_delay_alu instid0(VALU_DEP_1) | instskip(NEXT) | instid1(VALU_DEP_1)
	v_mul_u32_u24_e32 v1, 0x10001, v1
	v_pk_mul_f16 v14, v14, v1
	v_pk_mul_f16 v15, v15, v1
	;; [unrolled: 1-line block ×4, first 2 shown]
	s_wait_dscnt 0x0
	v_add_f32_e32 v8, v8, v11
	ds_bpermute_b32 v11, v5, v8
	s_wait_dscnt 0x0
	v_add_f32_e32 v12, v8, v11
	v_and_b32_e32 v8, 0x1e0, v68
	s_delay_alu instid0(VALU_DEP_1) | instskip(SKIP_3) | instid1(VALU_DEP_1)
	v_lshlrev_b32_e32 v11, 2, v8
	ds_bpermute_b32 v18, v6, v12
	v_lshl_add_u32 v8, v66, 2, 0x900
	v_lshl_add_u32 v11, v66, 9, v11
	v_lshl_or_b32 v11, v67, 2, v11
	ds_store_b128 v65, v[14:17]
	ds_store_b128 v11, v[14:17]
	s_wait_dscnt 0x2
	v_add_f32_e32 v12, v12, v18
	s_and_saveexec_b32 s1, s0
; %bb.58:
	ds_store_b32 v8, v12
; %bb.59:
	s_or_b32 exec_lo, exec_lo, s1
	v_cmp_gt_u32_e64 s1, 64, v63
	s_mul_i32 s2, s36, s34
	s_wait_dscnt 0x0
	s_add_co_i32 s2, s48, s2
	s_barrier_signal -1
	s_barrier_wait -1
	s_and_saveexec_b32 s3, s1
	s_cbranch_execz .LBB9_61
; %bb.60:
	ds_load_u16 v1, v64
	ds_load_u16 v12, v64 offset:128
	ds_load_u16 v14, v64 offset:256
	;; [unrolled: 1-line block ×6, first 2 shown]
	s_mul_i32 s5, s2, s35
	s_delay_alu instid0(SALU_CYCLE_1)
	s_add_co_i32 s5, s5, s33
	s_wait_dscnt 0x6
	v_cvt_f32_f16_e32 v1, v1
	s_wait_dscnt 0x5
	v_cvt_f32_f16_e32 v12, v12
	;; [unrolled: 2-line block ×4, first 2 shown]
	v_add_f32_e32 v1, 0, v1
	s_wait_dscnt 0x1
	v_cvt_f32_f16_e32 v17, v17
	s_wait_dscnt 0x0
	v_cvt_f32_f16_e32 v18, v18
	v_add_f32_e32 v1, v1, v12
	v_cvt_f32_f16_e32 v12, v15
	s_delay_alu instid0(VALU_DEP_2)
	v_add_f32_e32 v1, v1, v14
	ds_load_u16 v14, v64 offset:896
	ds_load_b32 v15, v2
	v_add_f32_e32 v1, v1, v12
	ds_load_u16 v12, v64 offset:1024
	v_add_f32_e32 v1, v1, v16
	ds_load_u16 v16, v64 offset:1152
	ds_load_u16 v19, v64 offset:1280
	;; [unrolled: 1-line block ×6, first 2 shown]
	s_load_b32 s4, s[22:23], 0x4
	v_add_f32_e32 v1, v1, v17
	s_wait_dscnt 0x8
	v_cvt_f32_f16_e32 v14, v14
	s_delay_alu instid0(VALU_DEP_2)
	v_add_f32_e32 v1, v1, v18
	s_wait_dscnt 0x7
	ds_bpermute_b32 v17, v7, v15
	s_wait_dscnt 0x7
	v_cvt_f32_f16_e32 v12, v12
	v_add_f32_e32 v1, v1, v14
	s_wait_dscnt 0x6
	v_cvt_f32_f16_e32 v14, v16
	s_delay_alu instid0(VALU_DEP_2)
	v_add_f32_e32 v1, v1, v12
	s_wait_dscnt 0x5
	v_cvt_f32_f16_e32 v12, v19
	s_wait_dscnt 0x4
	v_cvt_f32_f16_e32 v16, v20
	s_wait_kmcnt 0x0
	s_mul_i32 s5, s4, s5
	v_add_f32_e32 v1, v1, v14
	s_add_co_i32 s5, s5, s49
	s_cmp_eq_u32 s4, 1
	s_delay_alu instid0(VALU_DEP_1)
	v_add_f32_e32 v14, v1, v12
	ds_load_u16 v1, v64 offset:1920
	s_wait_dscnt 0x1
	v_pk_add_f32 v[14:15], v[14:15], v[16:17]
	v_cvt_f32_f16_e32 v16, v21
	ds_bpermute_b32 v17, v3, v15
	s_wait_dscnt 0x0
	v_pk_add_f32 v[14:15], v[14:15], v[16:17]
	v_cvt_f32_f16_e32 v16, v22
	ds_bpermute_b32 v17, v4, v15
	;; [unrolled: 4-line block ×4, first 2 shown]
	s_wait_dscnt 0x0
	v_pk_add_f32 v[14:15], v[14:15], v[16:17]
	s_delay_alu instid0(VALU_DEP_1) | instskip(NEXT) | instid1(VALU_DEP_1)
	v_div_scale_f32 v1, null, v15, v15, v14
	v_rcp_f32_e32 v12, v1
	v_nop
	s_delay_alu instid0(TRANS32_DEP_1) | instskip(NEXT) | instid1(VALU_DEP_1)
	v_fma_f32 v16, -v1, v12, 1.0
	v_fmac_f32_e32 v12, v16, v12
	v_div_scale_f32 v16, vcc_lo, v14, v15, v14
	s_delay_alu instid0(VALU_DEP_1) | instskip(NEXT) | instid1(VALU_DEP_1)
	v_mul_f32_e32 v17, v16, v12
	v_fma_f32 v18, -v1, v17, v16
	s_delay_alu instid0(VALU_DEP_1) | instskip(NEXT) | instid1(VALU_DEP_1)
	v_fmac_f32_e32 v17, v18, v12
	v_fma_f32 v1, -v1, v17, v16
	v_lshl_or_b32 v16, s5, 6, v63
	s_delay_alu instid0(VALU_DEP_2) | instskip(SKIP_2) | instid1(VALU_DEP_2)
	v_div_fmas_f32 v1, v1, v12, v17
	s_cselect_b32 vcc_lo, -1, 0
	v_mov_b32_e32 v12, v15
	v_div_fixup_f32 v1, v1, v15, v14
	s_delay_alu instid0(VALU_DEP_1)
	v_cndmask_b32_e32 v1, v14, v1, vcc_lo
	global_store_b32 v16, v1, s[24:25] scale_offset
.LBB9_61:
	s_wait_xcnt 0x0
	s_or_b32 exec_lo, exec_lo, s3
	s_delay_alu instid0(SALU_CYCLE_1)
	s_and_not1_b32 vcc_lo, exec_lo, s50
	s_wait_storecnt 0x0
	s_barrier_signal -1
	s_barrier_wait -1
	s_cbranch_vccnz .LBB9_67
; %bb.62:
	ds_load_b32 v1, v10 offset:128
	s_wait_dscnt 0x0
	ds_bpermute_b32 v10, v7, v1
	s_wait_dscnt 0x0
	v_dual_max_num_f32 v1, v1, v1 :: v_dual_max_num_f32 v10, v10, v10
	s_delay_alu instid0(VALU_DEP_1) | instskip(SKIP_3) | instid1(VALU_DEP_1)
	v_max_num_f32_e32 v1, v1, v10
	ds_bpermute_b32 v10, v3, v1
	s_wait_dscnt 0x0
	v_max_num_f32_e32 v10, v10, v10
	v_max_num_f32_e32 v1, v1, v10
	ds_bpermute_b32 v10, v4, v1
	s_wait_dscnt 0x0
	v_max_num_f32_e32 v10, v10, v10
	s_delay_alu instid0(VALU_DEP_1) | instskip(SKIP_3) | instid1(VALU_DEP_1)
	v_max_num_f32_e32 v1, v1, v10
	ds_bpermute_b32 v10, v5, v1
	s_wait_dscnt 0x0
	v_max_num_f32_e32 v10, v10, v10
	v_max_num_f32_e32 v1, v1, v10
	ds_bpermute_b32 v10, v6, v1
	s_wait_dscnt 0x0
	v_max_num_f32_e32 v10, v10, v10
	s_delay_alu instid0(VALU_DEP_1) | instskip(NEXT) | instid1(VALU_DEP_1)
	v_max_num_f32_e32 v1, v1, v10
	v_sub_f32_e32 v9, v9, v1
	s_delay_alu instid0(VALU_DEP_1) | instskip(NEXT) | instid1(VALU_DEP_1)
	v_mul_f32_e32 v10, 0x3fb8aa3b, v9
	v_fma_f32 v14, 0x3fb8aa3b, v9, -v10
	v_rndne_f32_e32 v15, v10
	s_delay_alu instid0(VALU_DEP_1) | instskip(NEXT) | instid1(VALU_DEP_3)
	v_sub_f32_e32 v10, v10, v15
	v_fmamk_f32 v14, v9, 0x32a5705f, v14
	v_cmp_ngt_f32_e32 vcc_lo, 0xc2ce8ed0, v9
	s_delay_alu instid0(VALU_DEP_2) | instskip(SKIP_1) | instid1(VALU_DEP_2)
	v_add_f32_e32 v10, v10, v14
	v_cvt_i32_f32_e32 v14, v15
	v_exp_f32_e32 v10, v10
	v_nop
	s_delay_alu instid0(TRANS32_DEP_1) | instskip(SKIP_3) | instid1(VALU_DEP_2)
	v_ldexp_f32 v10, v10, v14
	ds_load_b128 v[14:17], v65 offset:16
	v_cndmask_b32_e32 v10, 0, v10, vcc_lo
	v_cmp_nlt_f32_e32 vcc_lo, 0x42b17218, v9
	v_cndmask_b32_e32 v9, 0x7f800000, v10, vcc_lo
	s_delay_alu instid0(VALU_DEP_1)
	v_mul_f32_e32 v10, v13, v9
	ds_bpermute_b32 v10, v7, v10
	s_wait_dscnt 0x0
	v_fmac_f32_e32 v10, v13, v9
	ds_bpermute_b32 v13, v3, v10
	s_wait_dscnt 0x0
	v_add_f32_e32 v10, v10, v13
	v_cvt_f16_f32_e32 v9, v9
	ds_bpermute_b32 v13, v4, v10
	v_and_b32_e32 v9, 0xffff, v9
	s_delay_alu instid0(VALU_DEP_1) | instskip(NEXT) | instid1(VALU_DEP_1)
	v_mul_u32_u24_e32 v9, 0x10001, v9
	v_pk_mul_f16 v14, v14, v9
	v_pk_mul_f16 v15, v15, v9
	;; [unrolled: 1-line block ×4, first 2 shown]
	ds_store_b128 v65, v[14:17] offset:16
	ds_store_b128 v11, v[14:17]
	s_wait_dscnt 0x2
	v_add_f32_e32 v10, v10, v13
	ds_bpermute_b32 v13, v5, v10
	s_wait_dscnt 0x0
	v_add_f32_e32 v10, v10, v13
	ds_bpermute_b32 v13, v6, v10
	s_wait_dscnt 0x0
	v_add_f32_e32 v13, v10, v13
	s_and_saveexec_b32 s3, s0
; %bb.63:
	ds_store_b32 v8, v13 offset:128
; %bb.64:
	s_or_b32 exec_lo, exec_lo, s3
	s_wait_dscnt 0x0
	s_barrier_signal -1
	s_barrier_wait -1
	s_and_saveexec_b32 s0, s1
	s_cbranch_execz .LBB9_66
; %bb.65:
	ds_load_u16 v8, v64
	ds_load_u16 v9, v64 offset:128
	ds_load_u16 v10, v64 offset:256
	;; [unrolled: 1-line block ×6, first 2 shown]
	s_add_co_i32 s2, s2, 1
	s_delay_alu instid0(SALU_CYCLE_1) | instskip(NEXT) | instid1(SALU_CYCLE_1)
	s_mul_i32 s2, s2, s35
	s_add_co_i32 s2, s2, s33
	s_wait_dscnt 0x6
	v_cvt_f32_f16_e32 v8, v8
	s_wait_dscnt 0x5
	v_cvt_f32_f16_e32 v9, v9
	;; [unrolled: 2-line block ×4, first 2 shown]
	v_add_f32_e32 v8, 0, v8
	s_delay_alu instid0(VALU_DEP_1) | instskip(NEXT) | instid1(VALU_DEP_1)
	v_add_f32_e32 v8, v8, v9
	v_add_f32_e32 v8, v8, v10
	ds_load_u16 v10, v64 offset:896
	ds_load_b32 v9, v2 offset:128
	s_wait_dscnt 0x4
	v_cvt_f32_f16_e32 v2, v13
	ds_load_u16 v13, v64 offset:1024
	v_add_f32_e32 v8, v8, v11
	s_wait_dscnt 0x4
	v_cvt_f32_f16_e32 v11, v14
	s_wait_dscnt 0x3
	v_cvt_f32_f16_e32 v14, v15
	v_add_f32_e32 v2, v8, v2
	ds_load_u16 v8, v64 offset:1152
	ds_load_u16 v15, v64 offset:1280
	;; [unrolled: 1-line block ×6, first 2 shown]
	s_load_b32 s1, s[22:23], 0x4
	v_add_f32_e32 v2, v2, v11
	s_wait_dscnt 0x8
	v_cvt_f32_f16_e32 v10, v10
	s_delay_alu instid0(VALU_DEP_2)
	v_add_f32_e32 v2, v2, v14
	s_wait_dscnt 0x7
	ds_bpermute_b32 v11, v7, v9
	s_wait_dscnt 0x7
	v_cvt_f32_f16_e32 v7, v13
	v_add_f32_e32 v2, v2, v10
	s_wait_dscnt 0x4
	v_cvt_f32_f16_e32 v10, v16
	v_cvt_f32_f16_e32 v8, v8
	s_delay_alu instid0(VALU_DEP_3) | instskip(SKIP_3) | instid1(SALU_CYCLE_1)
	v_add_f32_e32 v2, v2, v7
	v_cvt_f32_f16_e32 v7, v15
	s_wait_kmcnt 0x0
	s_mul_i32 s2, s1, s2
	s_add_co_i32 s2, s2, s49
	v_add_f32_e32 v2, v2, v8
	s_cmp_eq_u32 s1, 1
	s_delay_alu instid0(VALU_DEP_1)
	v_add_f32_e32 v8, v2, v7
	s_wait_dscnt 0x3
	v_cvt_f32_f16_e32 v2, v17
	ds_load_u16 v7, v64 offset:1920
	s_wait_dscnt 0x1
	v_pk_add_f32 v[8:9], v[8:9], v[10:11]
	ds_bpermute_b32 v3, v3, v9
	s_wait_dscnt 0x0
	v_pk_add_f32 v[2:3], v[8:9], v[2:3]
	v_cvt_f32_f16_e32 v8, v18
	ds_bpermute_b32 v9, v4, v3
	v_cvt_f32_f16_e32 v4, v19
	s_wait_dscnt 0x0
	v_pk_add_f32 v[2:3], v[2:3], v[8:9]
	ds_bpermute_b32 v5, v5, v3
	s_wait_dscnt 0x0
	v_pk_add_f32 v[2:3], v[2:3], v[4:5]
	v_cvt_f32_f16_e32 v4, v7
	ds_bpermute_b32 v5, v6, v3
	s_wait_dscnt 0x0
	v_pk_add_f32 v[2:3], v[2:3], v[4:5]
	s_delay_alu instid0(VALU_DEP_1) | instskip(SKIP_1) | instid1(VALU_DEP_2)
	v_div_scale_f32 v4, null, v3, v3, v2
	v_mov_b32_e32 v13, v3
	v_rcp_f32_e32 v5, v4
	v_nop
	s_delay_alu instid0(TRANS32_DEP_1) | instskip(NEXT) | instid1(VALU_DEP_1)
	v_fma_f32 v6, -v4, v5, 1.0
	v_fmac_f32_e32 v5, v6, v5
	v_div_scale_f32 v6, vcc_lo, v2, v3, v2
	s_delay_alu instid0(VALU_DEP_1) | instskip(NEXT) | instid1(VALU_DEP_1)
	v_mul_f32_e32 v7, v6, v5
	v_fma_f32 v8, -v4, v7, v6
	s_delay_alu instid0(VALU_DEP_1) | instskip(NEXT) | instid1(VALU_DEP_1)
	v_fmac_f32_e32 v7, v8, v5
	v_fma_f32 v4, -v4, v7, v6
	s_delay_alu instid0(VALU_DEP_1) | instskip(SKIP_2) | instid1(VALU_DEP_2)
	v_div_fmas_f32 v4, v4, v5, v7
	s_cselect_b32 vcc_lo, -1, 0
	v_lshl_or_b32 v5, s2, 6, v63
	v_div_fixup_f32 v4, v4, v3, v2
	s_delay_alu instid0(VALU_DEP_1)
	v_cndmask_b32_e32 v2, v2, v4, vcc_lo
	global_store_b32 v5, v2, s[24:25] scale_offset
.LBB9_66:
	s_wait_xcnt 0x0
	s_or_b32 exec_lo, exec_lo, s0
	s_branch .LBB9_68
.LBB9_67:
	v_mov_b32_e32 v1, v9
.LBB9_68:
	s_delay_alu instid0(VALU_DEP_1)
	v_mov_b64_e32 v[8:9], v[0:1]
.LBB9_69:
	s_load_b32 s1, s[22:23], 0x4
	v_or_b32_e32 v0, s48, v62
	v_cmp_gt_u32_e32 vcc_lo, 2, v63
	s_delay_alu instid0(VALU_DEP_2) | instskip(SKIP_3) | instid1(SALU_CYCLE_1)
	v_cmp_gt_i32_e64 s0, s34, v0
	s_wait_kmcnt 0x0
	s_cmp_lg_u32 s1, 1
	s_cselect_b32 s2, -1, 0
	s_and_b32 s2, s2, vcc_lo
	s_delay_alu instid0(SALU_CYCLE_1) | instskip(NEXT) | instid1(SALU_CYCLE_1)
	s_and_b32 s0, s2, s0
	s_and_saveexec_b32 s2, s0
	s_cbranch_execz .LBB9_71
; %bb.70:
	v_mad_u32 v0, s36, s34, v0
	v_cmp_eq_u32_e32 vcc_lo, 1, v63
	v_cndmask_b32_e32 v1, v12, v13, vcc_lo
	s_delay_alu instid0(VALU_DEP_3) | instskip(NEXT) | instid1(VALU_DEP_1)
	v_mad_u32 v0, v0, s35, s33
	v_mad_u32 v2, s1, v0, s49
	v_cndmask_b32_e32 v0, v8, v9, vcc_lo
	global_store_b64 v2, v[0:1], s[26:27] scale_offset
.LBB9_71:
	s_sendmsg sendmsg(MSG_DEALLOC_VGPRS)
	s_endpgm
	.section	.rodata,"a",@progbits
	.p2align	6, 0x0
	.amdhsa_kernel _ZL18flash_attn_ext_vecILi64ELi2EL9ggml_type1ELS0_1ELb0EEvPKcS2_S2_S2_S2_PKiPfP15HIP_vector_typeIfLj2EEffffjfiS6_IjLj3EEiiiiiiiiiiiliiliiiiil
		.amdhsa_group_segment_fixed_size 6656
		.amdhsa_private_segment_fixed_size 0
		.amdhsa_kernarg_size 464
		.amdhsa_user_sgpr_count 4
		.amdhsa_user_sgpr_dispatch_ptr 1
		.amdhsa_user_sgpr_queue_ptr 0
		.amdhsa_user_sgpr_kernarg_segment_ptr 1
		.amdhsa_user_sgpr_dispatch_id 0
		.amdhsa_user_sgpr_kernarg_preload_length 0
		.amdhsa_user_sgpr_kernarg_preload_offset 0
		.amdhsa_user_sgpr_private_segment_size 0
		.amdhsa_wavefront_size32 1
		.amdhsa_uses_dynamic_stack 0
		.amdhsa_enable_private_segment 0
		.amdhsa_system_sgpr_workgroup_id_x 1
		.amdhsa_system_sgpr_workgroup_id_y 1
		.amdhsa_system_sgpr_workgroup_id_z 1
		.amdhsa_system_sgpr_workgroup_info 0
		.amdhsa_system_vgpr_workitem_id 2
		.amdhsa_next_free_vgpr 132
		.amdhsa_next_free_sgpr 54
		.amdhsa_named_barrier_count 0
		.amdhsa_reserve_vcc 1
		.amdhsa_float_round_mode_32 0
		.amdhsa_float_round_mode_16_64 0
		.amdhsa_float_denorm_mode_32 3
		.amdhsa_float_denorm_mode_16_64 3
		.amdhsa_fp16_overflow 0
		.amdhsa_memory_ordered 1
		.amdhsa_forward_progress 1
		.amdhsa_inst_pref_size 80
		.amdhsa_round_robin_scheduling 0
		.amdhsa_exception_fp_ieee_invalid_op 0
		.amdhsa_exception_fp_denorm_src 0
		.amdhsa_exception_fp_ieee_div_zero 0
		.amdhsa_exception_fp_ieee_overflow 0
		.amdhsa_exception_fp_ieee_underflow 0
		.amdhsa_exception_fp_ieee_inexact 0
		.amdhsa_exception_int_div_zero 0
	.end_amdhsa_kernel
	.section	.text._ZL18flash_attn_ext_vecILi64ELi2EL9ggml_type1ELS0_1ELb0EEvPKcS2_S2_S2_S2_PKiPfP15HIP_vector_typeIfLj2EEffffjfiS6_IjLj3EEiiiiiiiiiiiliiliiiiil,"axG",@progbits,_ZL18flash_attn_ext_vecILi64ELi2EL9ggml_type1ELS0_1ELb0EEvPKcS2_S2_S2_S2_PKiPfP15HIP_vector_typeIfLj2EEffffjfiS6_IjLj3EEiiiiiiiiiiiliiliiiiil,comdat
.Lfunc_end9:
	.size	_ZL18flash_attn_ext_vecILi64ELi2EL9ggml_type1ELS0_1ELb0EEvPKcS2_S2_S2_S2_PKiPfP15HIP_vector_typeIfLj2EEffffjfiS6_IjLj3EEiiiiiiiiiiiliiliiiiil, .Lfunc_end9-_ZL18flash_attn_ext_vecILi64ELi2EL9ggml_type1ELS0_1ELb0EEvPKcS2_S2_S2_S2_PKiPfP15HIP_vector_typeIfLj2EEffffjfiS6_IjLj3EEiiiiiiiiiiiliiliiiiil
                                        ; -- End function
	.set _ZL18flash_attn_ext_vecILi64ELi2EL9ggml_type1ELS0_1ELb0EEvPKcS2_S2_S2_S2_PKiPfP15HIP_vector_typeIfLj2EEffffjfiS6_IjLj3EEiiiiiiiiiiiliiliiiiil.num_vgpr, 132
	.set _ZL18flash_attn_ext_vecILi64ELi2EL9ggml_type1ELS0_1ELb0EEvPKcS2_S2_S2_S2_PKiPfP15HIP_vector_typeIfLj2EEffffjfiS6_IjLj3EEiiiiiiiiiiiliiliiiiil.num_agpr, 0
	.set _ZL18flash_attn_ext_vecILi64ELi2EL9ggml_type1ELS0_1ELb0EEvPKcS2_S2_S2_S2_PKiPfP15HIP_vector_typeIfLj2EEffffjfiS6_IjLj3EEiiiiiiiiiiiliiliiiiil.numbered_sgpr, 54
	.set _ZL18flash_attn_ext_vecILi64ELi2EL9ggml_type1ELS0_1ELb0EEvPKcS2_S2_S2_S2_PKiPfP15HIP_vector_typeIfLj2EEffffjfiS6_IjLj3EEiiiiiiiiiiiliiliiiiil.num_named_barrier, 0
	.set _ZL18flash_attn_ext_vecILi64ELi2EL9ggml_type1ELS0_1ELb0EEvPKcS2_S2_S2_S2_PKiPfP15HIP_vector_typeIfLj2EEffffjfiS6_IjLj3EEiiiiiiiiiiiliiliiiiil.private_seg_size, 0
	.set _ZL18flash_attn_ext_vecILi64ELi2EL9ggml_type1ELS0_1ELb0EEvPKcS2_S2_S2_S2_PKiPfP15HIP_vector_typeIfLj2EEffffjfiS6_IjLj3EEiiiiiiiiiiiliiliiiiil.uses_vcc, 1
	.set _ZL18flash_attn_ext_vecILi64ELi2EL9ggml_type1ELS0_1ELb0EEvPKcS2_S2_S2_S2_PKiPfP15HIP_vector_typeIfLj2EEffffjfiS6_IjLj3EEiiiiiiiiiiiliiliiiiil.uses_flat_scratch, 0
	.set _ZL18flash_attn_ext_vecILi64ELi2EL9ggml_type1ELS0_1ELb0EEvPKcS2_S2_S2_S2_PKiPfP15HIP_vector_typeIfLj2EEffffjfiS6_IjLj3EEiiiiiiiiiiiliiliiiiil.has_dyn_sized_stack, 0
	.set _ZL18flash_attn_ext_vecILi64ELi2EL9ggml_type1ELS0_1ELb0EEvPKcS2_S2_S2_S2_PKiPfP15HIP_vector_typeIfLj2EEffffjfiS6_IjLj3EEiiiiiiiiiiiliiliiiiil.has_recursion, 0
	.set _ZL18flash_attn_ext_vecILi64ELi2EL9ggml_type1ELS0_1ELb0EEvPKcS2_S2_S2_S2_PKiPfP15HIP_vector_typeIfLj2EEffffjfiS6_IjLj3EEiiiiiiiiiiiliiliiiiil.has_indirect_call, 0
	.section	.AMDGPU.csdata,"",@progbits
; Kernel info:
; codeLenInByte = 10184
; TotalNumSgprs: 56
; NumVgprs: 132
; ScratchSize: 0
; MemoryBound: 0
; FloatMode: 240
; IeeeMode: 1
; LDSByteSize: 6656 bytes/workgroup (compile time only)
; SGPRBlocks: 0
; VGPRBlocks: 8
; NumSGPRsForWavesPerEU: 56
; NumVGPRsForWavesPerEU: 132
; NamedBarCnt: 0
; Occupancy: 7
; WaveLimiterHint : 1
; COMPUTE_PGM_RSRC2:SCRATCH_EN: 0
; COMPUTE_PGM_RSRC2:USER_SGPR: 4
; COMPUTE_PGM_RSRC2:TRAP_HANDLER: 0
; COMPUTE_PGM_RSRC2:TGID_X_EN: 1
; COMPUTE_PGM_RSRC2:TGID_Y_EN: 1
; COMPUTE_PGM_RSRC2:TGID_Z_EN: 1
; COMPUTE_PGM_RSRC2:TIDIG_COMP_CNT: 2
	.section	.text._ZL25flash_attn_mask_to_KV_maxILi2EEvPK7__half2Piiii,"axG",@progbits,_ZL25flash_attn_mask_to_KV_maxILi2EEvPK7__half2Piiii,comdat
	.globl	_ZL25flash_attn_mask_to_KV_maxILi2EEvPK7__half2Piiii ; -- Begin function _ZL25flash_attn_mask_to_KV_maxILi2EEvPK7__half2Piiii
	.p2align	8
	.type	_ZL25flash_attn_mask_to_KV_maxILi2EEvPK7__half2Piiii,@function
_ZL25flash_attn_mask_to_KV_maxILi2EEvPK7__half2Piiii: ; @_ZL25flash_attn_mask_to_KV_maxILi2EEvPK7__half2Piiii
; %bb.0:
	s_load_b128 s[4:7], s[0:1], 0x0
	s_mov_b32 s2, exec_lo
	v_cmpx_gt_u32_e32 32, v0
; %bb.1:
	v_dual_mov_b32 v2, 1 :: v_dual_lshlrev_b32 v1, 2, v0
	ds_store_b32 v1, v2
; %bb.2:
	s_or_b32 exec_lo, exec_lo, s2
	s_clause 0x1
	s_load_b96 s[8:10], s[0:1], 0x10
	s_load_b32 s11, s[0:1], 0x20
	s_wait_xcnt 0x0
	s_bfe_u32 s1, ttmp6, 0x4000c
	s_bfe_u32 s2, ttmp6, 0x40010
	s_add_co_i32 s1, s1, 1
	s_add_co_i32 s2, s2, 1
	s_and_b32 s0, ttmp6, 15
	s_bfe_u32 s3, ttmp6, 0x40004
	s_mul_i32 s1, ttmp9, s1
	s_mul_i32 s2, ttmp7, s2
	s_getreg_b32 s12, hwreg(HW_REG_IB_STS2, 6, 4)
	s_add_co_i32 s0, s0, s1
	s_add_co_i32 s3, s3, s2
	s_cmp_eq_u32 s12, 0
	v_dual_lshrrev_b32 v1, 3, v0 :: v_dual_bitop2_b32 v2, 31, v0 bitop3:0x40
	s_cselect_b32 s1, ttmp9, s0
	s_cselect_b32 s12, ttmp7, s3
	s_wait_dscnt 0x0
	s_barrier_signal -1
	s_wait_kmcnt 0x0
	s_mul_i32 s0, s1, s9
	s_mul_i32 s2, s10, s12
	s_lshl_b32 s0, s0, 1
	s_barrier_wait -1
	s_add_co_i32 s2, s2, s0
	v_cmp_eq_u32_e64 s0, 0, v2
	s_ashr_i32 s3, s2, 31
	v_lshlrev_b32_e32 v2, 2, v2
	s_lshl_b64 s[2:3], s[2:3], 2
	s_delay_alu instid0(SALU_CYCLE_1)
	s_add_nc_u64 s[2:3], s[4:5], s[2:3]
	s_lshl_b32 s5, s8, 8
	s_branch .LBB10_4
.LBB10_3:                               ;   in Loop: Header=BB10_4 Depth=1
	s_or_b32 exec_lo, exec_lo, s8
	s_wait_dscnt 0x0
	s_barrier_signal -1
	s_barrier_wait -1
	ds_load_b32 v3, v2
	s_wait_dscnt 0x0
	s_barrier_signal -1
	s_barrier_wait -1
	v_cmp_ne_u32_e32 vcc_lo, 0, v3
	s_cmp_lg_u32 vcc_lo, exec_lo
	s_cselect_b32 s8, -1, 0
	s_delay_alu instid0(SALU_CYCLE_1)
	s_and_b32 vcc_lo, exec_lo, s8
	s_cbranch_vccnz .LBB10_12
.LBB10_4:                               ; =>This Inner Loop Header: Depth=1
	s_mov_b32 s4, s5
	s_addk_co_i32 s5, 0xff00
	s_delay_alu instid0(SALU_CYCLE_1)
	s_cmp_lt_i32 s5, 0
	s_cbranch_scc1 .LBB10_11
; %bb.5:                                ;   in Loop: Header=BB10_4 Depth=1
	s_lshr_b32 s8, s5, 1
	s_delay_alu instid0(SALU_CYCLE_1) | instskip(SKIP_4) | instid1(VALU_DEP_2)
	v_add_nc_u32_e32 v3, s8, v0
	global_load_b32 v4, v3, s[2:3] scale_offset
	s_wait_loadcnt 0x0
	v_lshrrev_b32_e32 v5, 16, v4
	v_cmp_class_f16_e64 s8, v4, 0x204
	v_cmp_class_f16_e64 s10, v5, 0x204
	s_and_b32 s13, s8, s10
	s_mov_b32 s10, 0
	s_and_saveexec_b32 s8, s13
	s_cbranch_execz .LBB10_9
; %bb.6:                                ;   in Loop: Header=BB10_4 Depth=1
	v_add_nc_u32_e32 v3, s9, v3
	global_load_b32 v3, v3, s[2:3] scale_offset
	s_wait_loadcnt 0x0
	v_cmp_class_f16_e64 s14, v3, 0x204
	s_and_saveexec_b32 s13, s14
; %bb.7:                                ;   in Loop: Header=BB10_4 Depth=1
	v_lshrrev_b32_e32 v3, 16, v3
	s_delay_alu instid0(VALU_DEP_1)
	v_cmp_class_f16_e64 s10, v3, 0x204
	s_and_b32 s10, s10, exec_lo
; %bb.8:                                ;   in Loop: Header=BB10_4 Depth=1
	s_or_b32 exec_lo, exec_lo, s13
	s_delay_alu instid0(SALU_CYCLE_1)
	s_and_b32 s10, s10, exec_lo
.LBB10_9:                               ;   in Loop: Header=BB10_4 Depth=1
	s_or_b32 exec_lo, exec_lo, s8
	v_cndmask_b32_e64 v3, 0, 1, s10
	s_mov_b32 s13, exec_lo
	s_delay_alu instid0(VALU_DEP_1)
	v_cmp_ne_u32_e32 vcc_lo, 0, v3
	s_and_saveexec_b32 s8, s0
	s_cbranch_execz .LBB10_3
; %bb.10:                               ;   in Loop: Header=BB10_4 Depth=1
	s_cmp_eq_u32 vcc_lo, s13
	s_cselect_b32 s10, -1, 0
	s_delay_alu instid0(SALU_CYCLE_1)
	v_cndmask_b32_e64 v3, 0, 1, s10
	ds_store_b32 v1, v3
	s_branch .LBB10_3
.LBB10_11:                              ;   in Loop: Header=BB10_4 Depth=1
	s_cbranch_execz .LBB10_4
.LBB10_12:
	s_mov_b32 s0, exec_lo
	v_cmpx_eq_u32_e32 0, v0
	s_cbranch_execz .LBB10_14
; %bb.13:
	s_mul_i32 s0, s11, s12
	v_mov_b32_e32 v1, s4
	s_add_co_i32 s0, s0, s1
	s_delay_alu instid0(SALU_CYCLE_1)
	v_mov_b32_e32 v0, s0
	global_store_b32 v0, v1, s[6:7] scale_offset
.LBB10_14:
	s_endpgm
	.section	.rodata,"a",@progbits
	.p2align	6, 0x0
	.amdhsa_kernel _ZL25flash_attn_mask_to_KV_maxILi2EEvPK7__half2Piiii
		.amdhsa_group_segment_fixed_size 128
		.amdhsa_private_segment_fixed_size 0
		.amdhsa_kernarg_size 288
		.amdhsa_user_sgpr_count 2
		.amdhsa_user_sgpr_dispatch_ptr 0
		.amdhsa_user_sgpr_queue_ptr 0
		.amdhsa_user_sgpr_kernarg_segment_ptr 1
		.amdhsa_user_sgpr_dispatch_id 0
		.amdhsa_user_sgpr_kernarg_preload_length 0
		.amdhsa_user_sgpr_kernarg_preload_offset 0
		.amdhsa_user_sgpr_private_segment_size 0
		.amdhsa_wavefront_size32 1
		.amdhsa_uses_dynamic_stack 0
		.amdhsa_enable_private_segment 0
		.amdhsa_system_sgpr_workgroup_id_x 1
		.amdhsa_system_sgpr_workgroup_id_y 1
		.amdhsa_system_sgpr_workgroup_id_z 0
		.amdhsa_system_sgpr_workgroup_info 0
		.amdhsa_system_vgpr_workitem_id 0
		.amdhsa_next_free_vgpr 6
		.amdhsa_next_free_sgpr 15
		.amdhsa_named_barrier_count 0
		.amdhsa_reserve_vcc 1
		.amdhsa_float_round_mode_32 0
		.amdhsa_float_round_mode_16_64 0
		.amdhsa_float_denorm_mode_32 3
		.amdhsa_float_denorm_mode_16_64 3
		.amdhsa_fp16_overflow 0
		.amdhsa_memory_ordered 1
		.amdhsa_forward_progress 1
		.amdhsa_inst_pref_size 5
		.amdhsa_round_robin_scheduling 0
		.amdhsa_exception_fp_ieee_invalid_op 0
		.amdhsa_exception_fp_denorm_src 0
		.amdhsa_exception_fp_ieee_div_zero 0
		.amdhsa_exception_fp_ieee_overflow 0
		.amdhsa_exception_fp_ieee_underflow 0
		.amdhsa_exception_fp_ieee_inexact 0
		.amdhsa_exception_int_div_zero 0
	.end_amdhsa_kernel
	.section	.text._ZL25flash_attn_mask_to_KV_maxILi2EEvPK7__half2Piiii,"axG",@progbits,_ZL25flash_attn_mask_to_KV_maxILi2EEvPK7__half2Piiii,comdat
.Lfunc_end10:
	.size	_ZL25flash_attn_mask_to_KV_maxILi2EEvPK7__half2Piiii, .Lfunc_end10-_ZL25flash_attn_mask_to_KV_maxILi2EEvPK7__half2Piiii
                                        ; -- End function
	.set _ZL25flash_attn_mask_to_KV_maxILi2EEvPK7__half2Piiii.num_vgpr, 6
	.set _ZL25flash_attn_mask_to_KV_maxILi2EEvPK7__half2Piiii.num_agpr, 0
	.set _ZL25flash_attn_mask_to_KV_maxILi2EEvPK7__half2Piiii.numbered_sgpr, 15
	.set _ZL25flash_attn_mask_to_KV_maxILi2EEvPK7__half2Piiii.num_named_barrier, 0
	.set _ZL25flash_attn_mask_to_KV_maxILi2EEvPK7__half2Piiii.private_seg_size, 0
	.set _ZL25flash_attn_mask_to_KV_maxILi2EEvPK7__half2Piiii.uses_vcc, 1
	.set _ZL25flash_attn_mask_to_KV_maxILi2EEvPK7__half2Piiii.uses_flat_scratch, 0
	.set _ZL25flash_attn_mask_to_KV_maxILi2EEvPK7__half2Piiii.has_dyn_sized_stack, 0
	.set _ZL25flash_attn_mask_to_KV_maxILi2EEvPK7__half2Piiii.has_recursion, 0
	.set _ZL25flash_attn_mask_to_KV_maxILi2EEvPK7__half2Piiii.has_indirect_call, 0
	.section	.AMDGPU.csdata,"",@progbits
; Kernel info:
; codeLenInByte = 548
; TotalNumSgprs: 17
; NumVgprs: 6
; ScratchSize: 0
; MemoryBound: 0
; FloatMode: 240
; IeeeMode: 1
; LDSByteSize: 128 bytes/workgroup (compile time only)
; SGPRBlocks: 0
; VGPRBlocks: 0
; NumSGPRsForWavesPerEU: 17
; NumVGPRsForWavesPerEU: 6
; NamedBarCnt: 0
; Occupancy: 16
; WaveLimiterHint : 0
; COMPUTE_PGM_RSRC2:SCRATCH_EN: 0
; COMPUTE_PGM_RSRC2:USER_SGPR: 2
; COMPUTE_PGM_RSRC2:TRAP_HANDLER: 0
; COMPUTE_PGM_RSRC2:TGID_X_EN: 1
; COMPUTE_PGM_RSRC2:TGID_Y_EN: 1
; COMPUTE_PGM_RSRC2:TGID_Z_EN: 0
; COMPUTE_PGM_RSRC2:TIDIG_COMP_CNT: 0
	.section	.text._ZL33flash_attn_stream_k_fixup_uniformILi64ELi2ELi1EEvPfPK15HIP_vector_typeIfLj2EEiiiiiiS1_IjLj3EES5_S5_,"axG",@progbits,_ZL33flash_attn_stream_k_fixup_uniformILi64ELi2ELi1EEvPfPK15HIP_vector_typeIfLj2EEiiiiiiS1_IjLj3EES5_S5_,comdat
	.globl	_ZL33flash_attn_stream_k_fixup_uniformILi64ELi2ELi1EEvPfPK15HIP_vector_typeIfLj2EEiiiiiiS1_IjLj3EES5_S5_ ; -- Begin function _ZL33flash_attn_stream_k_fixup_uniformILi64ELi2ELi1EEvPfPK15HIP_vector_typeIfLj2EEiiiiiiS1_IjLj3EES5_S5_
	.p2align	8
	.type	_ZL33flash_attn_stream_k_fixup_uniformILi64ELi2ELi1EEvPfPK15HIP_vector_typeIfLj2EEiiiiiiS1_IjLj3EES5_S5_,@function
_ZL33flash_attn_stream_k_fixup_uniformILi64ELi2ELi1EEvPfPK15HIP_vector_typeIfLj2EEiiiiiiS1_IjLj3EES5_S5_: ; @_ZL33flash_attn_stream_k_fixup_uniformILi64ELi2ELi1EEvPfPK15HIP_vector_typeIfLj2EEiiiiiiS1_IjLj3EES5_S5_
; %bb.0:
	s_load_b256 s[4:11], s[0:1], 0x1c
	s_bfe_u32 s2, ttmp6, 0x40014
	s_lshr_b32 s3, ttmp7, 16
	s_add_co_i32 s2, s2, 1
	s_bfe_u32 s13, ttmp6, 0x40010
	s_mul_i32 s2, s3, s2
	s_bfe_u32 s12, ttmp6, 0x40008
	s_and_b32 s14, ttmp7, 0xffff
	s_add_co_i32 s13, s13, 1
	s_bfe_u32 s15, ttmp6, 0x4000c
	s_add_co_i32 s2, s12, s2
	s_mul_i32 s12, s14, s13
	s_bfe_u32 s13, ttmp6, 0x40004
	s_add_co_i32 s15, s15, 1
	s_add_co_i32 s13, s13, s12
	s_and_b32 s12, ttmp6, 15
	s_mul_i32 s15, ttmp9, s15
	s_getreg_b32 s20, hwreg(HW_REG_IB_STS2, 6, 4)
	s_add_co_i32 s12, s12, s15
	s_load_b128 s[16:19], s[0:1], 0x3c
	s_cmp_eq_u32 s20, 0
	s_cselect_b32 s12, ttmp9, s12
	s_cselect_b32 s13, s14, s13
	s_wait_kmcnt 0x0
	s_mul_hi_u32 s7, s7, s12
	s_cselect_b32 s14, s3, s2
	s_add_co_i32 s2, s12, s7
	s_delay_alu instid0(SALU_CYCLE_1) | instskip(NEXT) | instid1(SALU_CYCLE_1)
	s_lshr_b32 s7, s2, s8
	s_mul_i32 s2, s7, s9
	s_delay_alu instid0(SALU_CYCLE_1) | instskip(NEXT) | instid1(SALU_CYCLE_1)
	s_sub_co_i32 s8, s12, s2
	s_mul_hi_u32 s2, s8, s10
	s_delay_alu instid0(SALU_CYCLE_1) | instskip(SKIP_2) | instid1(SALU_CYCLE_1)
	s_add_co_i32 s9, s8, s2
	s_load_b64 s[2:3], s[0:1], 0x10
	s_lshr_b32 s15, s9, s11
	s_mul_i32 s9, s15, s16
	s_delay_alu instid0(SALU_CYCLE_1) | instskip(NEXT) | instid1(SALU_CYCLE_1)
	s_sub_co_i32 s8, s8, s9
	s_mul_hi_u32 s9, s8, s17
	s_delay_alu instid0(SALU_CYCLE_1) | instskip(NEXT) | instid1(SALU_CYCLE_1)
	s_add_co_i32 s9, s8, s9
	s_lshr_b32 s16, s9, s18
	s_delay_alu instid0(SALU_CYCLE_1) | instskip(NEXT) | instid1(SALU_CYCLE_1)
	s_mul_i32 s9, s16, s19
	s_sub_co_i32 s17, s8, s9
	s_delay_alu instid0(SALU_CYCLE_1) | instskip(NEXT) | instid1(SALU_CYCLE_1)
	s_lshl_b32 s8, s17, 1
	s_add_co_i32 s8, s8, s13
	s_wait_kmcnt 0x0
	s_cmp_lt_i32 s8, s2
	s_cselect_b32 s8, -1, 0
	s_add_co_i32 s9, s16, s14
	s_delay_alu instid0(SALU_CYCLE_1) | instskip(SKIP_1) | instid1(SALU_CYCLE_1)
	s_cmp_lt_i32 s9, s5
	s_cselect_b32 s9, -1, 0
	s_and_b32 s8, s8, s9
	s_delay_alu instid0(SALU_CYCLE_1)
	s_and_not1_b32 vcc_lo, exec_lo, s8
	s_cbranch_vccnz .LBB11_6
; %bb.1:
	s_mul_i32 s2, s7, s2
	s_load_b128 s[8:11], s[0:1], 0x0
	s_wait_xcnt 0x0
	s_add_co_i32 s0, s2, s13
	s_mul_i32 s15, s15, s5
	s_mul_i32 s0, s0, s3
	;; [unrolled: 1-line block ×3, first 2 shown]
	s_add_co_i32 s0, s0, s14
	s_lshl_b32 s1, s1, 7
	s_add_co_i32 s0, s0, s15
	s_mul_i32 s7, s6, s12
	s_add_co_i32 s0, s0, s16
	s_add_co_i32 s5, s7, s6
	s_lshl_b32 s0, s0, 6
	s_add_co_i32 s13, s13, s14
	s_add_co_i32 s1, s1, s0
	s_lshl_b32 s0, s5, 1
	v_or_b32_e32 v4, s1, v0
	s_add_co_i32 s0, s13, s0
	s_add_co_i32 s2, s5, -2
	s_add_co_i32 s0, s0, -2
	s_delay_alu instid0(SALU_CYCLE_1)
	s_ashr_i32 s1, s0, 31
	s_wait_kmcnt 0x0
	global_load_b32 v3, v4, s[8:9] scale_offset
	s_lshl_b64 s[0:1], s[0:1], 3
	v_ashrrev_i32_e32 v5, 31, v4
	s_add_nc_u64 s[0:1], s[10:11], s[0:1]
	s_cmp_lt_i32 s2, s7
	s_load_b32 s14, s[0:1], 0x4
	s_cbranch_scc1 .LBB11_4
; %bb.2:
	s_wait_xcnt 0x0
	s_load_b32 s0, s[0:1], 0x0
	s_add_co_i32 s12, s12, 1
	s_lshl_b32 s3, s13, 6
	s_wait_xcnt 0x0
	s_mul_i32 s1, s6, s12
	s_lshl_b32 s2, s4, 3
	s_lshl_b32 s6, s1, 7
	;; [unrolled: 1-line block ×3, first 2 shown]
	s_add_co_i32 s6, s3, s6
	s_ashr_i32 s3, s2, 31
	s_wait_kmcnt 0x0
	v_dual_mov_b32 v2, s14 :: v_dual_bitop2_b32 v0, s6, v0 bitop3:0x54
	s_add_co_i32 s1, s13, s1
	s_lshl_b32 s4, s4, 1
	s_lshl_b64 s[2:3], s[2:3], 2
	s_delay_alu instid0(VALU_DEP_1)
	v_add_nc_u32_e32 v0, 0xffffff00, v0
	s_add_co_i32 s4, s1, s4
	s_add_nc_u64 s[2:3], s[10:11], s[2:3]
	s_add_co_i32 s1, s5, -1
	s_add_co_i32 s4, s4, -4
.LBB11_3:                               ; =>This Inner Loop Header: Depth=1
	global_load_b32 v7, v0, s[2:3] scale_offset
	s_ashr_i32 s5, s4, 31
	v_max_num_f32_e64 v1, s0, s0
	s_lshl_b64 s[12:13], s[4:5], 3
	s_delay_alu instid0(SALU_CYCLE_1) | instskip(SKIP_1) | instid1(VALU_DEP_1)
	s_add_nc_u64 s[12:13], s[10:11], s[12:13]
	s_load_b64 s[12:13], s[12:13], 0x0
	v_readfirstlane_b32 s5, v1
	v_add_nc_u32_e32 v0, 0xffffff80, v0
	s_wait_kmcnt 0x0
	v_max_num_f32_e64 v1, s12, s12
	s_delay_alu instid0(VALU_DEP_1) | instskip(SKIP_1) | instid1(SALU_CYCLE_3)
	v_readfirstlane_b32 s6, v1
	s_max_num_f32 s5, s5, s6
	s_sub_f32 s0, s0, s5
	s_sub_f32 s6, s12, s5
	s_delay_alu instid0(SALU_CYCLE_2) | instskip(NEXT) | instid1(SALU_CYCLE_2)
	s_mul_f32 s12, s0, 0x3fb8aa3b
	s_mul_f32 s14, s6, 0x3fb8aa3b
	s_delay_alu instid0(SALU_CYCLE_2)
	s_xor_b32 s15, s12, 0x80000000
	s_rndne_f32 s16, s12
	s_fmamk_f32 s15, s0, 0x3fb8aa3b, s15
	s_cmp_nlt_f32 s0, 0xc2ce8ed0
	s_rndne_f32 s17, s14
	s_sub_f32 s12, s12, s16
	s_fmamk_f32 s15, s0, 0x32a5705f, s15
	s_cselect_b32 vcc_lo, -1, 0
	s_cmp_ngt_f32 s0, 0x42b17218
	s_delay_alu instid0(SALU_CYCLE_1) | instskip(SKIP_2) | instid1(SALU_CYCLE_1)
	s_add_f32 s12, s12, s15
	s_cvt_i32_f32 s15, s16
	s_sub_f32 s16, s14, s17
	v_s_exp_f32 s12, s12
	v_nop
	s_delay_alu instid0(TRANS32_DEP_1) | instskip(SKIP_1) | instid1(VALU_DEP_1)
	v_ldexp_f32 v1, s12, s15
	s_cvt_i32_f32 s12, s17
	v_cndmask_b32_e32 v1, 0, v1, vcc_lo
	s_cselect_b32 vcc_lo, -1, 0
	s_cmp_ge_f32 s0, 0xc1a00000
	s_delay_alu instid0(VALU_DEP_1)
	v_cndmask_b32_e32 v1, 0x7f800000, v1, vcc_lo
	s_cselect_b32 vcc_lo, -1, 0
	s_xor_b32 s0, s14, 0x80000000
	s_cmp_nlt_f32 s6, 0xc2ce8ed0
	s_fmamk_f32 s0, s6, 0x3fb8aa3b, s0
	v_cndmask_b32_e32 v10, 0, v1, vcc_lo
	s_delay_alu instid0(SALU_CYCLE_2) | instskip(NEXT) | instid1(SALU_CYCLE_3)
	s_fmamk_f32 s0, s6, 0x32a5705f, s0
	s_add_f32 s0, s16, s0
	s_delay_alu instid0(SALU_CYCLE_3) | instskip(SKIP_1) | instid1(TRANS32_DEP_1)
	v_s_exp_f32 s0, s0
	v_nop
	v_ldexp_f32 v6, s0, s12
	s_cselect_b32 s0, -1, 0
	s_cmp_ngt_f32 s6, 0x42b17218
	s_delay_alu instid0(VALU_DEP_1) | instskip(SKIP_2) | instid1(VALU_DEP_1)
	v_cndmask_b32_e64 v6, 0, v6, s0
	s_cselect_b32 s0, -1, 0
	s_cmp_ge_f32 s6, 0xc1a00000
	v_cndmask_b32_e64 v8, 0x7f800000, v6, s0
	s_cselect_b32 s0, -1, 0
	v_mov_b32_e32 v6, s13
	s_add_co_i32 s1, s1, -1
	s_add_co_i32 s4, s4, -2
	v_cndmask_b32_e64 v8, 0, v8, s0
	s_cmp_le_i32 s1, s7
	s_mov_b32 s0, s5
	s_wait_loadcnt 0x0
	s_delay_alu instid0(VALU_DEP_1) | instskip(NEXT) | instid1(VALU_DEP_1)
	v_pk_mul_f32 v[6:7], v[6:7], v[8:9] op_sel_hi:[1,0]
	v_pk_fma_f32 v[2:3], v[2:3], v[10:11], v[6:7] op_sel_hi:[1,0,1]
	s_cbranch_scc0 .LBB11_3
	s_branch .LBB11_5
.LBB11_4:
	s_wait_kmcnt 0x0
	v_mov_b32_e32 v2, s14
.LBB11_5:
	v_lshl_add_u64 v[0:1], v[4:5], 2, s[8:9]
	s_wait_loadcnt 0x0
	s_delay_alu instid0(VALU_DEP_2) | instskip(NEXT) | instid1(VALU_DEP_1)
	v_div_scale_f32 v4, null, v2, v2, v3
	v_rcp_f32_e32 v5, v4
	v_nop
	s_delay_alu instid0(TRANS32_DEP_1) | instskip(NEXT) | instid1(VALU_DEP_1)
	v_fma_f32 v6, -v4, v5, 1.0
	v_fmac_f32_e32 v5, v6, v5
	v_div_scale_f32 v6, vcc_lo, v3, v2, v3
	s_delay_alu instid0(VALU_DEP_1) | instskip(NEXT) | instid1(VALU_DEP_1)
	v_mul_f32_e32 v7, v6, v5
	v_fma_f32 v8, -v4, v7, v6
	s_delay_alu instid0(VALU_DEP_1) | instskip(NEXT) | instid1(VALU_DEP_1)
	v_fmac_f32_e32 v7, v8, v5
	v_fma_f32 v4, -v4, v7, v6
	s_delay_alu instid0(VALU_DEP_1) | instskip(NEXT) | instid1(VALU_DEP_1)
	v_div_fmas_f32 v4, v4, v5, v7
	v_div_fixup_f32 v2, v4, v2, v3
	global_store_b32 v[0:1], v2, off
.LBB11_6:
	s_endpgm
	.section	.rodata,"a",@progbits
	.p2align	6, 0x0
	.amdhsa_kernel _ZL33flash_attn_stream_k_fixup_uniformILi64ELi2ELi1EEvPfPK15HIP_vector_typeIfLj2EEiiiiiiS1_IjLj3EES5_S5_
		.amdhsa_group_segment_fixed_size 0
		.amdhsa_private_segment_fixed_size 0
		.amdhsa_kernarg_size 76
		.amdhsa_user_sgpr_count 2
		.amdhsa_user_sgpr_dispatch_ptr 0
		.amdhsa_user_sgpr_queue_ptr 0
		.amdhsa_user_sgpr_kernarg_segment_ptr 1
		.amdhsa_user_sgpr_dispatch_id 0
		.amdhsa_user_sgpr_kernarg_preload_length 0
		.amdhsa_user_sgpr_kernarg_preload_offset 0
		.amdhsa_user_sgpr_private_segment_size 0
		.amdhsa_wavefront_size32 1
		.amdhsa_uses_dynamic_stack 0
		.amdhsa_enable_private_segment 0
		.amdhsa_system_sgpr_workgroup_id_x 1
		.amdhsa_system_sgpr_workgroup_id_y 1
		.amdhsa_system_sgpr_workgroup_id_z 1
		.amdhsa_system_sgpr_workgroup_info 0
		.amdhsa_system_vgpr_workitem_id 0
		.amdhsa_next_free_vgpr 12
		.amdhsa_next_free_sgpr 21
		.amdhsa_named_barrier_count 0
		.amdhsa_reserve_vcc 1
		.amdhsa_float_round_mode_32 0
		.amdhsa_float_round_mode_16_64 0
		.amdhsa_float_denorm_mode_32 3
		.amdhsa_float_denorm_mode_16_64 3
		.amdhsa_fp16_overflow 0
		.amdhsa_memory_ordered 1
		.amdhsa_forward_progress 1
		.amdhsa_inst_pref_size 9
		.amdhsa_round_robin_scheduling 0
		.amdhsa_exception_fp_ieee_invalid_op 0
		.amdhsa_exception_fp_denorm_src 0
		.amdhsa_exception_fp_ieee_div_zero 0
		.amdhsa_exception_fp_ieee_overflow 0
		.amdhsa_exception_fp_ieee_underflow 0
		.amdhsa_exception_fp_ieee_inexact 0
		.amdhsa_exception_int_div_zero 0
	.end_amdhsa_kernel
	.section	.text._ZL33flash_attn_stream_k_fixup_uniformILi64ELi2ELi1EEvPfPK15HIP_vector_typeIfLj2EEiiiiiiS1_IjLj3EES5_S5_,"axG",@progbits,_ZL33flash_attn_stream_k_fixup_uniformILi64ELi2ELi1EEvPfPK15HIP_vector_typeIfLj2EEiiiiiiS1_IjLj3EES5_S5_,comdat
.Lfunc_end11:
	.size	_ZL33flash_attn_stream_k_fixup_uniformILi64ELi2ELi1EEvPfPK15HIP_vector_typeIfLj2EEiiiiiiS1_IjLj3EES5_S5_, .Lfunc_end11-_ZL33flash_attn_stream_k_fixup_uniformILi64ELi2ELi1EEvPfPK15HIP_vector_typeIfLj2EEiiiiiiS1_IjLj3EES5_S5_
                                        ; -- End function
	.set _ZL33flash_attn_stream_k_fixup_uniformILi64ELi2ELi1EEvPfPK15HIP_vector_typeIfLj2EEiiiiiiS1_IjLj3EES5_S5_.num_vgpr, 12
	.set _ZL33flash_attn_stream_k_fixup_uniformILi64ELi2ELi1EEvPfPK15HIP_vector_typeIfLj2EEiiiiiiS1_IjLj3EES5_S5_.num_agpr, 0
	.set _ZL33flash_attn_stream_k_fixup_uniformILi64ELi2ELi1EEvPfPK15HIP_vector_typeIfLj2EEiiiiiiS1_IjLj3EES5_S5_.numbered_sgpr, 21
	.set _ZL33flash_attn_stream_k_fixup_uniformILi64ELi2ELi1EEvPfPK15HIP_vector_typeIfLj2EEiiiiiiS1_IjLj3EES5_S5_.num_named_barrier, 0
	.set _ZL33flash_attn_stream_k_fixup_uniformILi64ELi2ELi1EEvPfPK15HIP_vector_typeIfLj2EEiiiiiiS1_IjLj3EES5_S5_.private_seg_size, 0
	.set _ZL33flash_attn_stream_k_fixup_uniformILi64ELi2ELi1EEvPfPK15HIP_vector_typeIfLj2EEiiiiiiS1_IjLj3EES5_S5_.uses_vcc, 1
	.set _ZL33flash_attn_stream_k_fixup_uniformILi64ELi2ELi1EEvPfPK15HIP_vector_typeIfLj2EEiiiiiiS1_IjLj3EES5_S5_.uses_flat_scratch, 0
	.set _ZL33flash_attn_stream_k_fixup_uniformILi64ELi2ELi1EEvPfPK15HIP_vector_typeIfLj2EEiiiiiiS1_IjLj3EES5_S5_.has_dyn_sized_stack, 0
	.set _ZL33flash_attn_stream_k_fixup_uniformILi64ELi2ELi1EEvPfPK15HIP_vector_typeIfLj2EEiiiiiiS1_IjLj3EES5_S5_.has_recursion, 0
	.set _ZL33flash_attn_stream_k_fixup_uniformILi64ELi2ELi1EEvPfPK15HIP_vector_typeIfLj2EEiiiiiiS1_IjLj3EES5_S5_.has_indirect_call, 0
	.section	.AMDGPU.csdata,"",@progbits
; Kernel info:
; codeLenInByte = 1080
; TotalNumSgprs: 23
; NumVgprs: 12
; ScratchSize: 0
; MemoryBound: 0
; FloatMode: 240
; IeeeMode: 1
; LDSByteSize: 0 bytes/workgroup (compile time only)
; SGPRBlocks: 0
; VGPRBlocks: 0
; NumSGPRsForWavesPerEU: 23
; NumVGPRsForWavesPerEU: 12
; NamedBarCnt: 0
; Occupancy: 16
; WaveLimiterHint : 0
; COMPUTE_PGM_RSRC2:SCRATCH_EN: 0
; COMPUTE_PGM_RSRC2:USER_SGPR: 2
; COMPUTE_PGM_RSRC2:TRAP_HANDLER: 0
; COMPUTE_PGM_RSRC2:TGID_X_EN: 1
; COMPUTE_PGM_RSRC2:TGID_Y_EN: 1
; COMPUTE_PGM_RSRC2:TGID_Z_EN: 1
; COMPUTE_PGM_RSRC2:TIDIG_COMP_CNT: 0
	.section	.text._ZL33flash_attn_stream_k_fixup_generalILi64ELi2ELi1EEvPfPK15HIP_vector_typeIfLj2EEiiiiS1_IjLj3EES5_S5_S5_,"axG",@progbits,_ZL33flash_attn_stream_k_fixup_generalILi64ELi2ELi1EEvPfPK15HIP_vector_typeIfLj2EEiiiiS1_IjLj3EES5_S5_S5_,comdat
	.globl	_ZL33flash_attn_stream_k_fixup_generalILi64ELi2ELi1EEvPfPK15HIP_vector_typeIfLj2EEiiiiS1_IjLj3EES5_S5_S5_ ; -- Begin function _ZL33flash_attn_stream_k_fixup_generalILi64ELi2ELi1EEvPfPK15HIP_vector_typeIfLj2EEiiiiS1_IjLj3EES5_S5_S5_
	.p2align	8
	.type	_ZL33flash_attn_stream_k_fixup_generalILi64ELi2ELi1EEvPfPK15HIP_vector_typeIfLj2EEiiiiS1_IjLj3EES5_S5_S5_,@function
_ZL33flash_attn_stream_k_fixup_generalILi64ELi2ELi1EEvPfPK15HIP_vector_typeIfLj2EEiiiiS1_IjLj3EES5_S5_S5_: ; @_ZL33flash_attn_stream_k_fixup_generalILi64ELi2ELi1EEvPfPK15HIP_vector_typeIfLj2EEiiiiS1_IjLj3EES5_S5_S5_
; %bb.0:
	s_clause 0x1
	s_load_b128 s[4:7], s[0:1], 0x10
	s_load_b32 s16, s[0:1], 0x50
	s_bfe_u32 s2, ttmp6, 0x4000c
	s_and_b32 s3, ttmp6, 15
	s_add_co_i32 s2, s2, 1
	s_getreg_b32 s15, hwreg(HW_REG_IB_STS2, 6, 4)
	s_mul_i32 s2, ttmp9, s2
	s_mov_b32 s17, 0
	s_add_co_i32 s3, s3, s2
	s_cmp_eq_u32 s15, 0
	s_cselect_b32 s2, ttmp9, s3
	s_delay_alu instid0(SALU_CYCLE_1) | instskip(SKIP_3) | instid1(SALU_CYCLE_1)
	s_ashr_i32 s3, s2, 31
	s_wait_kmcnt 0x0
	s_ashr_i32 s19, s7, 31
	s_mov_b32 s18, s7
	s_mul_u64 s[8:9], s[18:19], s[2:3]
	s_delay_alu instid0(SALU_CYCLE_1) | instskip(NEXT) | instid1(SALU_CYCLE_1)
	s_and_b64 s[10:11], s[8:9], 0xffffffff00000000
	s_cmp_lg_u64 s[10:11], 0
	s_cbranch_scc0 .LBB12_21
; %bb.1:
	s_add_nc_u64 s[10:11], s[16:17], 0
	s_mov_b32 s23, s17
	s_xor_b64 s[10:11], s[10:11], 0
	s_mov_b32 s27, s17
	s_cvt_f32_u32 s3, s10
	s_cvt_f32_u32 s7, s11
	s_sub_nc_u64 s[20:21], 0, s[10:11]
	s_delay_alu instid0(SALU_CYCLE_2) | instskip(NEXT) | instid1(SALU_CYCLE_3)
	s_fmamk_f32 s3, s7, 0x4f800000, s3
	v_s_rcp_f32 s3, s3
	s_delay_alu instid0(TRANS32_DEP_1) | instskip(NEXT) | instid1(SALU_CYCLE_3)
	s_mul_f32 s3, s3, 0x5f7ffffc
	s_mul_f32 s7, s3, 0x2f800000
	s_delay_alu instid0(SALU_CYCLE_3) | instskip(NEXT) | instid1(SALU_CYCLE_3)
	s_trunc_f32 s7, s7
	s_fmamk_f32 s3, s7, 0xcf800000, s3
	s_cvt_u32_f32 s13, s7
	s_delay_alu instid0(SALU_CYCLE_2) | instskip(NEXT) | instid1(SALU_CYCLE_3)
	s_cvt_u32_f32 s12, s3
	s_mul_u64 s[24:25], s[20:21], s[12:13]
	s_delay_alu instid0(SALU_CYCLE_1)
	s_mul_hi_u32 s29, s12, s25
	s_mul_i32 s28, s12, s25
	s_mul_hi_u32 s22, s12, s24
	s_mul_i32 s7, s13, s24
	s_add_nc_u64 s[22:23], s[22:23], s[28:29]
	s_mul_hi_u32 s3, s13, s24
	s_mul_hi_u32 s14, s13, s25
	s_add_co_u32 s7, s22, s7
	s_add_co_ci_u32 s26, s23, s3
	s_mul_i32 s24, s13, s25
	s_add_co_ci_u32 s25, s14, 0
	s_delay_alu instid0(SALU_CYCLE_1) | instskip(SKIP_3) | instid1(SALU_CYCLE_1)
	s_add_nc_u64 s[22:23], s[26:27], s[24:25]
	s_mov_b32 s25, s17
	s_add_co_u32 s12, s12, s22
	s_cselect_b32 s3, -1, 0
	s_cmp_lg_u32 s3, 0
	s_add_co_ci_u32 s13, s13, s23
	s_mov_b32 s23, s17
	s_mul_u64 s[20:21], s[20:21], s[12:13]
	s_delay_alu instid0(SALU_CYCLE_1)
	s_mul_hi_u32 s27, s12, s21
	s_mul_i32 s26, s12, s21
	s_mul_hi_u32 s22, s12, s20
	s_mul_i32 s7, s13, s20
	s_add_nc_u64 s[22:23], s[22:23], s[26:27]
	s_mul_hi_u32 s3, s13, s20
	s_mul_hi_u32 s14, s13, s21
	s_add_co_u32 s7, s22, s7
	s_add_co_ci_u32 s24, s23, s3
	s_mul_i32 s20, s13, s21
	s_add_co_ci_u32 s21, s14, 0
	s_mov_b32 s23, s17
	s_add_nc_u64 s[20:21], s[24:25], s[20:21]
	s_delay_alu instid0(SALU_CYCLE_1) | instskip(SKIP_1) | instid1(SALU_CYCLE_1)
	s_add_co_u32 s3, s12, s20
	s_cselect_b32 s7, -1, 0
	s_cmp_lg_u32 s7, 0
	s_add_co_ci_u32 s7, s13, s21
	s_ashr_i32 s12, s9, 31
	s_delay_alu instid0(SALU_CYCLE_1) | instskip(NEXT) | instid1(SALU_CYCLE_1)
	s_mov_b32 s13, s12
	s_add_nc_u64 s[20:21], s[8:9], s[12:13]
	s_delay_alu instid0(SALU_CYCLE_1) | instskip(NEXT) | instid1(SALU_CYCLE_1)
	s_xor_b64 s[20:21], s[20:21], s[12:13]
	s_mul_hi_u32 s27, s20, s7
	s_mul_i32 s26, s20, s7
	s_mul_hi_u32 s22, s20, s3
	s_mul_hi_u32 s14, s21, s3
	s_mul_i32 s3, s21, s3
	s_add_nc_u64 s[22:23], s[22:23], s[26:27]
	s_mul_hi_u32 s9, s21, s7
	s_add_co_u32 s3, s22, s3
	s_add_co_ci_u32 s24, s23, s14
	s_mul_i32 s26, s21, s7
	s_add_co_ci_u32 s27, s9, 0
	s_delay_alu instid0(SALU_CYCLE_1) | instskip(NEXT) | instid1(SALU_CYCLE_1)
	s_add_nc_u64 s[22:23], s[24:25], s[26:27]
	s_and_b64 s[24:25], s[22:23], 0xffffffff00000000
	s_delay_alu instid0(SALU_CYCLE_1) | instskip(NEXT) | instid1(SALU_CYCLE_1)
	s_or_b32 s24, s24, s22
	s_mul_u64 s[22:23], s[10:11], s[24:25]
	s_add_nc_u64 s[26:27], s[24:25], 1
	s_sub_co_u32 s3, s20, s22
	s_cselect_b32 s7, -1, 0
	s_sub_co_i32 s9, s21, s23
	s_cmp_lg_u32 s7, 0
	s_add_nc_u64 s[28:29], s[24:25], 2
	s_sub_co_ci_u32 s9, s9, s11
	s_sub_co_u32 s14, s3, s10
	s_cselect_b32 s20, -1, 0
	s_delay_alu instid0(SALU_CYCLE_1) | instskip(SKIP_1) | instid1(SALU_CYCLE_1)
	s_cmp_lg_u32 s20, 0
	s_sub_co_ci_u32 s9, s9, 0
	s_cmp_ge_u32 s9, s11
	s_cselect_b32 s20, -1, 0
	s_cmp_ge_u32 s14, s10
	s_cselect_b32 s14, -1, 0
	s_cmp_eq_u32 s9, s11
	s_cselect_b32 s9, s14, s20
	s_delay_alu instid0(SALU_CYCLE_1) | instskip(SKIP_4) | instid1(SALU_CYCLE_1)
	s_cmp_lg_u32 s9, 0
	s_cselect_b32 s9, s28, s26
	s_cselect_b32 s14, s29, s27
	s_cmp_lg_u32 s7, 0
	s_sub_co_ci_u32 s7, s21, s23
	s_cmp_ge_u32 s7, s11
	s_cselect_b32 s20, -1, 0
	s_cmp_ge_u32 s3, s10
	s_cselect_b32 s3, -1, 0
	s_cmp_eq_u32 s7, s11
	s_cselect_b32 s3, s3, s20
	s_delay_alu instid0(SALU_CYCLE_1) | instskip(SKIP_4) | instid1(SALU_CYCLE_1)
	s_cmp_lg_u32 s3, 0
	s_mov_b32 s3, s17
	s_cselect_b32 s11, s14, s25
	s_cselect_b32 s10, s9, s24
	s_xor_b64 s[12:13], s[12:13], 0
	s_xor_b64 s[10:11], s[10:11], s[12:13]
	s_delay_alu instid0(SALU_CYCLE_1)
	s_sub_nc_u64 s[20:21], s[10:11], s[12:13]
	s_and_not1_b32 vcc_lo, exec_lo, s3
	s_cbranch_vccnz .LBB12_3
.LBB12_2:
	v_cvt_f32_u32_e32 v1, s16
	s_sub_co_i32 s7, 0, s16
	s_mov_b32 s21, 0
	s_delay_alu instid0(VALU_DEP_1) | instskip(SKIP_1) | instid1(TRANS32_DEP_1)
	v_rcp_iflag_f32_e32 v1, v1
	v_nop
	v_mul_f32_e32 v1, 0x4f7ffffe, v1
	s_delay_alu instid0(VALU_DEP_1) | instskip(NEXT) | instid1(VALU_DEP_1)
	v_cvt_u32_f32_e32 v1, v1
	v_readfirstlane_b32 s3, v1
	s_mul_i32 s7, s7, s3
	s_delay_alu instid0(SALU_CYCLE_1) | instskip(NEXT) | instid1(SALU_CYCLE_1)
	s_mul_hi_u32 s7, s3, s7
	s_add_co_i32 s3, s3, s7
	s_delay_alu instid0(SALU_CYCLE_1) | instskip(NEXT) | instid1(SALU_CYCLE_1)
	s_mul_hi_u32 s3, s8, s3
	s_mul_i32 s7, s3, s16
	s_delay_alu instid0(SALU_CYCLE_1)
	s_sub_co_i32 s7, s8, s7
	s_add_co_i32 s8, s3, 1
	s_sub_co_i32 s9, s7, s16
	s_cmp_ge_u32 s7, s16
	s_cselect_b32 s3, s8, s3
	s_cselect_b32 s7, s9, s7
	s_add_co_i32 s8, s3, 1
	s_cmp_ge_u32 s7, s16
	s_cselect_b32 s20, s8, s3
.LBB12_3:
	s_add_co_i32 s8, s2, 1
	s_delay_alu instid0(SALU_CYCLE_1) | instskip(NEXT) | instid1(SALU_CYCLE_1)
	s_ashr_i32 s9, s8, 31
	s_mul_u64 s[8:9], s[18:19], s[8:9]
	s_delay_alu instid0(SALU_CYCLE_1) | instskip(NEXT) | instid1(SALU_CYCLE_1)
	s_and_b64 s[10:11], s[8:9], 0xffffffff00000000
	s_cmp_lg_u64 s[10:11], 0
	s_cbranch_scc0 .LBB12_22
; %bb.4:
	s_add_nc_u64 s[10:11], s[16:17], 0
	s_delay_alu instid0(SALU_CYCLE_1) | instskip(SKIP_4) | instid1(SALU_CYCLE_2)
	s_xor_b64 s[12:13], s[10:11], 0
	s_mov_b32 s11, 0
	s_cvt_f32_u32 s3, s12
	s_cvt_f32_u32 s7, s13
	s_sub_nc_u64 s[24:25], 0, s[12:13]
	s_fmamk_f32 s3, s7, 0x4f800000, s3
	s_delay_alu instid0(SALU_CYCLE_3) | instskip(NEXT) | instid1(TRANS32_DEP_1)
	v_s_rcp_f32 s3, s3
	s_mul_f32 s3, s3, 0x5f7ffffc
	s_delay_alu instid0(SALU_CYCLE_3) | instskip(NEXT) | instid1(SALU_CYCLE_3)
	s_mul_f32 s7, s3, 0x2f800000
	s_trunc_f32 s7, s7
	s_delay_alu instid0(SALU_CYCLE_3) | instskip(SKIP_1) | instid1(SALU_CYCLE_2)
	s_fmamk_f32 s3, s7, 0xcf800000, s3
	s_cvt_u32_f32 s23, s7
	s_cvt_u32_f32 s22, s3
	s_delay_alu instid0(SALU_CYCLE_3) | instskip(NEXT) | instid1(SALU_CYCLE_1)
	s_mul_u64 s[26:27], s[24:25], s[22:23]
	s_mul_hi_u32 s29, s22, s27
	s_mul_i32 s28, s22, s27
	s_mul_hi_u32 s10, s22, s26
	s_mul_i32 s7, s23, s26
	s_add_nc_u64 s[28:29], s[10:11], s[28:29]
	s_mul_hi_u32 s3, s23, s26
	s_mul_hi_u32 s14, s23, s27
	s_add_co_u32 s7, s28, s7
	s_add_co_ci_u32 s10, s29, s3
	s_mul_i32 s26, s23, s27
	s_add_co_ci_u32 s27, s14, 0
	s_delay_alu instid0(SALU_CYCLE_1) | instskip(NEXT) | instid1(SALU_CYCLE_1)
	s_add_nc_u64 s[26:27], s[10:11], s[26:27]
	s_add_co_u32 s22, s22, s26
	s_cselect_b32 s3, -1, 0
	s_delay_alu instid0(SALU_CYCLE_1) | instskip(SKIP_1) | instid1(SALU_CYCLE_1)
	s_cmp_lg_u32 s3, 0
	s_add_co_ci_u32 s23, s23, s27
	s_mul_u64 s[24:25], s[24:25], s[22:23]
	s_delay_alu instid0(SALU_CYCLE_1)
	s_mul_hi_u32 s27, s22, s25
	s_mul_i32 s26, s22, s25
	s_mul_hi_u32 s10, s22, s24
	s_mul_i32 s7, s23, s24
	s_add_nc_u64 s[26:27], s[10:11], s[26:27]
	s_mul_hi_u32 s3, s23, s24
	s_mul_hi_u32 s14, s23, s25
	s_add_co_u32 s7, s26, s7
	s_add_co_ci_u32 s10, s27, s3
	s_mul_i32 s24, s23, s25
	s_add_co_ci_u32 s25, s14, 0
	s_delay_alu instid0(SALU_CYCLE_1) | instskip(NEXT) | instid1(SALU_CYCLE_1)
	s_add_nc_u64 s[24:25], s[10:11], s[24:25]
	s_add_co_u32 s3, s22, s24
	s_cselect_b32 s7, -1, 0
	s_delay_alu instid0(SALU_CYCLE_1) | instskip(SKIP_2) | instid1(SALU_CYCLE_1)
	s_cmp_lg_u32 s7, 0
	s_add_co_ci_u32 s7, s23, s25
	s_ashr_i32 s22, s9, 31
	s_mov_b32 s23, s22
	s_delay_alu instid0(SALU_CYCLE_1) | instskip(NEXT) | instid1(SALU_CYCLE_1)
	s_add_nc_u64 s[24:25], s[8:9], s[22:23]
	s_xor_b64 s[24:25], s[24:25], s[22:23]
	s_delay_alu instid0(SALU_CYCLE_1)
	s_mul_hi_u32 s27, s24, s7
	s_mul_i32 s26, s24, s7
	s_mul_hi_u32 s10, s24, s3
	s_mul_hi_u32 s14, s25, s3
	s_mul_i32 s3, s25, s3
	s_add_nc_u64 s[26:27], s[10:11], s[26:27]
	s_mul_hi_u32 s9, s25, s7
	s_add_co_u32 s3, s26, s3
	s_add_co_ci_u32 s10, s27, s14
	s_mul_i32 s28, s25, s7
	s_add_co_ci_u32 s29, s9, 0
	s_delay_alu instid0(SALU_CYCLE_1) | instskip(NEXT) | instid1(SALU_CYCLE_1)
	s_add_nc_u64 s[26:27], s[10:11], s[28:29]
	s_and_b64 s[28:29], s[26:27], 0xffffffff00000000
	s_delay_alu instid0(SALU_CYCLE_1) | instskip(NEXT) | instid1(SALU_CYCLE_1)
	s_or_b32 s28, s28, s26
	s_mul_u64 s[26:27], s[12:13], s[28:29]
	s_add_nc_u64 s[30:31], s[28:29], 1
	s_sub_co_u32 s3, s24, s26
	s_cselect_b32 s7, -1, 0
	s_sub_co_i32 s9, s25, s27
	s_cmp_lg_u32 s7, 0
	s_add_nc_u64 s[34:35], s[28:29], 2
	s_sub_co_ci_u32 s9, s9, s13
	s_sub_co_u32 s10, s3, s12
	s_cselect_b32 s14, -1, 0
	s_delay_alu instid0(SALU_CYCLE_1) | instskip(SKIP_1) | instid1(SALU_CYCLE_1)
	s_cmp_lg_u32 s14, 0
	s_sub_co_ci_u32 s9, s9, 0
	s_cmp_ge_u32 s9, s13
	s_cselect_b32 s14, -1, 0
	s_cmp_ge_u32 s10, s12
	s_cselect_b32 s10, -1, 0
	s_cmp_eq_u32 s9, s13
	s_cselect_b32 s9, s10, s14
	s_delay_alu instid0(SALU_CYCLE_1) | instskip(SKIP_4) | instid1(SALU_CYCLE_1)
	s_cmp_lg_u32 s9, 0
	s_cselect_b32 s9, s34, s30
	s_cselect_b32 s10, s35, s31
	s_cmp_lg_u32 s7, 0
	s_sub_co_ci_u32 s7, s25, s27
	s_cmp_ge_u32 s7, s13
	s_cselect_b32 s14, -1, 0
	s_cmp_ge_u32 s3, s12
	s_cselect_b32 s3, -1, 0
	s_cmp_eq_u32 s7, s13
	s_cselect_b32 s3, s3, s14
	s_delay_alu instid0(SALU_CYCLE_1) | instskip(SKIP_3) | instid1(SALU_CYCLE_1)
	s_cmp_lg_u32 s3, 0
	s_cselect_b32 s13, s10, s29
	s_cselect_b32 s12, s9, s28
	s_xor_b64 s[22:23], s[22:23], 0
	s_xor_b64 s[12:13], s[12:13], s[22:23]
	s_delay_alu instid0(SALU_CYCLE_1)
	s_sub_nc_u64 s[24:25], s[12:13], s[22:23]
	s_load_b96 s[12:14], s[0:1], 0x44
	s_cbranch_execnz .LBB12_6
.LBB12_5:
	v_cvt_f32_u32_e32 v1, s16
	s_sub_co_i32 s7, 0, s16
	s_delay_alu instid0(VALU_DEP_1) | instskip(SKIP_1) | instid1(TRANS32_DEP_1)
	v_rcp_iflag_f32_e32 v1, v1
	v_nop
	v_mul_f32_e32 v1, 0x4f7ffffe, v1
	s_delay_alu instid0(VALU_DEP_1) | instskip(NEXT) | instid1(VALU_DEP_1)
	v_cvt_u32_f32_e32 v1, v1
	v_readfirstlane_b32 s3, v1
	s_mul_i32 s7, s7, s3
	s_delay_alu instid0(SALU_CYCLE_1) | instskip(NEXT) | instid1(SALU_CYCLE_1)
	s_mul_hi_u32 s7, s3, s7
	s_add_co_i32 s3, s3, s7
	s_delay_alu instid0(SALU_CYCLE_1) | instskip(NEXT) | instid1(SALU_CYCLE_1)
	s_mul_hi_u32 s3, s8, s3
	s_mul_i32 s7, s3, s16
	s_delay_alu instid0(SALU_CYCLE_1)
	s_sub_co_i32 s7, s8, s7
	s_add_co_i32 s8, s3, 1
	s_sub_co_i32 s9, s7, s16
	s_cmp_ge_u32 s7, s16
	s_cselect_b32 s3, s8, s3
	s_cselect_b32 s7, s9, s7
	s_add_co_i32 s8, s3, 1
	s_cmp_ge_u32 s7, s16
	s_cselect_b32 s24, s8, s3
.LBB12_6:
	s_delay_alu instid0(SALU_CYCLE_1)
	s_cmp_eq_u32 s20, s24
	s_mov_b64 s[8:9], 0xffffffff
	s_cselect_b32 s3, -1, 0
	s_and_b64 s[8:9], s[20:21], s[8:9]
	s_mov_b32 s23, 0
	s_wait_kmcnt 0x0
	s_mov_b32 s22, s12
	s_mov_b32 s25, s23
	s_mul_u64 s[10:11], s[8:9], s[22:23]
	s_delay_alu instid0(SALU_CYCLE_1) | instskip(SKIP_2) | instid1(SALU_CYCLE_1)
	s_add_co_i32 s7, s11, s20
	s_mul_u64 s[10:11], s[24:25], s[22:23]
	s_lshr_b32 s12, s7, s13
	s_mul_i32 s7, s12, s14
	s_delay_alu instid0(SALU_CYCLE_1) | instskip(SKIP_2) | instid1(SALU_CYCLE_1)
	s_cmp_eq_u32 s7, s20
	s_cselect_b32 s7, -1, 0
	s_add_co_i32 s10, s11, s24
	s_lshr_b32 s10, s10, s13
	s_delay_alu instid0(SALU_CYCLE_1)
	s_cmp_eq_u32 s12, s10
	s_mul_i32 s10, s10, s14
	s_cselect_b32 s11, -1, 0
	s_cmp_lg_u32 s10, s24
	s_cselect_b32 s10, -1, 0
	s_or_b32 s3, s3, s7
	s_and_b32 s10, s11, s10
	s_delay_alu instid0(SALU_CYCLE_1) | instskip(NEXT) | instid1(SALU_CYCLE_1)
	s_or_b32 s3, s3, s10
	s_and_b32 vcc_lo, exec_lo, s3
	s_cbranch_vccnz .LBB12_24
; %bb.7:
	s_load_b256 s[24:31], s[0:1], 0x20
	s_bfe_u32 s7, ttmp6, 0x40014
	s_bfe_u32 s33, ttmp6, 0x40010
	s_lshr_b32 s3, ttmp7, 16
	s_add_co_i32 s7, s7, 1
	s_and_b32 s21, ttmp7, 0xffff
	s_add_co_i32 s33, s33, 1
	s_bfe_u32 s10, ttmp6, 0x40008
	s_mul_i32 s7, s3, s7
	s_bfe_u32 s34, ttmp6, 0x40004
	s_mul_i32 s33, s21, s33
	s_mov_b32 s11, s23
	s_add_co_i32 s7, s10, s7
	s_add_co_i32 s34, s34, s33
	s_cmp_eq_u32 s15, 0
	s_cselect_b32 s15, s21, s34
	s_cselect_b32 s3, s3, s7
	s_wait_kmcnt 0x0
	s_mov_b32 s10, s24
	s_delay_alu instid0(SALU_CYCLE_1) | instskip(SKIP_2) | instid1(SALU_CYCLE_1)
	s_mul_u64 s[8:9], s[8:9], s[10:11]
	s_load_b32 s8, s[0:1], 0x40
	s_add_co_i32 s7, s9, s20
	s_lshr_b32 s7, s7, s25
	s_delay_alu instid0(SALU_CYCLE_1) | instskip(NEXT) | instid1(SALU_CYCLE_1)
	s_mul_i32 s9, s7, s26
	s_sub_co_i32 s9, s20, s9
	s_delay_alu instid0(SALU_CYCLE_1) | instskip(NEXT) | instid1(SALU_CYCLE_1)
	s_mul_hi_u32 s10, s9, s27
	s_add_co_i32 s10, s9, s10
	s_delay_alu instid0(SALU_CYCLE_1) | instskip(NEXT) | instid1(SALU_CYCLE_1)
	s_lshr_b32 s21, s10, s28
	s_mul_i32 s10, s21, s29
	s_delay_alu instid0(SALU_CYCLE_1) | instskip(NEXT) | instid1(SALU_CYCLE_1)
	s_sub_co_i32 s10, s9, s10
	s_mul_hi_u32 s9, s10, s30
	s_delay_alu instid0(SALU_CYCLE_1) | instskip(NEXT) | instid1(SALU_CYCLE_1)
	s_add_co_i32 s9, s10, s9
	s_lshr_b32 s24, s9, s31
	s_mov_b32 s9, s23
	s_wait_kmcnt 0x0
	s_mul_i32 s8, s24, s8
	s_delay_alu instid0(SALU_CYCLE_1) | instskip(NEXT) | instid1(SALU_CYCLE_1)
	s_sub_co_i32 s8, s10, s8
	s_mul_u64 s[10:11], s[8:9], s[22:23]
	s_delay_alu instid0(SALU_CYCLE_1) | instskip(NEXT) | instid1(SALU_CYCLE_1)
	s_add_co_i32 s8, s8, s11
	s_lshr_b32 s25, s8, s13
	s_delay_alu instid0(SALU_CYCLE_1) | instskip(NEXT) | instid1(SALU_CYCLE_1)
	s_lshl_b32 s8, s25, 1
	s_add_co_i32 s8, s8, s15
	s_delay_alu instid0(SALU_CYCLE_1) | instskip(SKIP_2) | instid1(SALU_CYCLE_1)
	s_cmp_lt_i32 s8, s4
	s_cselect_b32 s8, -1, 0
	s_add_co_i32 s9, s24, s3
	s_cmp_lt_i32 s9, s6
	s_cselect_b32 s9, -1, 0
	s_delay_alu instid0(SALU_CYCLE_1) | instskip(NEXT) | instid1(SALU_CYCLE_1)
	s_and_b32 s8, s8, s9
	s_and_not1_b32 vcc_lo, exec_lo, s8
	s_cbranch_vccnz .LBB12_24
; %bb.8:
	s_mul_i32 s4, s7, s4
	s_load_b128 s[8:11], s[0:1], 0x0
	s_wait_xcnt 0x0
	s_add_co_i32 s0, s4, s15
	s_mul_i32 s21, s21, s6
	s_mul_i32 s0, s0, s5
	;; [unrolled: 1-line block ×3, first 2 shown]
	s_add_co_i32 s0, s0, s3
	s_lshl_b32 s1, s1, 7
	s_add_co_i32 s0, s0, s21
	s_add_co_i32 s15, s15, s3
	;; [unrolled: 1-line block ×3, first 2 shown]
	v_lshl_or_b32 v6, s15, 6, v0
	s_lshl_b32 s0, s0, 6
	v_cvt_f32_u32_e32 v4, s16
	s_add_co_i32 s1, s1, s0
	s_lshl_b32 s24, s16, 3
	v_or_b32_e32 v2, s1, v0
	s_add_nc_u64 s[0:1], s[16:17], 0
	v_rcp_iflag_f32_e32 v4, v4
	s_xor_b64 s[6:7], s[0:1], 0
	s_lshl_b32 s0, s2, 1
	s_cvt_f32_u32 s3, s6
	s_add_co_i32 s0, s0, s15
	s_cvt_f32_u32 s4, s7
	s_ashr_i32 s1, s0, 31
	s_mov_b32 s25, 0
	s_lshl_b64 s[0:1], s[0:1], 3
	s_fmamk_f32 s3, s4, 0x4f800000, s3
	s_wait_kmcnt 0x0
	s_add_nc_u64 s[0:1], s[10:11], s[0:1]
	s_add_co_i32 s36, s2, -1
	s_load_b64 s[28:29], s[0:1], 0x0
	v_s_rcp_f32 s3, s3
	s_wait_xcnt 0x0
	s_lshl_b64 s[0:1], s[24:25], 2
	s_sub_nc_u64 s[34:35], 0, s[6:7]
	s_add_nc_u64 s[26:27], s[10:11], s[0:1]
	v_mul_f32_e32 v4, 0x4f7ffffe, v4
	s_delay_alu instid0(TRANS32_DEP_1) | instskip(NEXT) | instid1(VALU_DEP_1)
	s_mul_f32 s3, s3, 0x5f7ffffc
	v_cvt_u32_f32_e32 v7, v4
	s_delay_alu instid0(SALU_CYCLE_2) | instskip(NEXT) | instid1(SALU_CYCLE_3)
	s_mul_f32 s4, s3, 0x2f800000
	s_trunc_f32 s4, s4
	s_wait_kmcnt 0x0
	v_mov_b32_e32 v0, s29
	global_load_b32 v1, v2, s[8:9] scale_offset
	v_ashrrev_i32_e32 v3, 31, v2
	s_fmamk_f32 s0, s4, 0xcf800000, s3
	s_cvt_u32_f32 s31, s4
	s_wait_xcnt 0x0
	s_delay_alu instid0(VALU_DEP_1)
	v_lshl_add_u64 v[2:3], v[2:3], 2, s[8:9]
	s_cvt_u32_f32 s30, s0
	s_mov_b64 s[8:9], 0xffffffff
.LBB12_9:                               ; =>This Inner Loop Header: Depth=1
	s_ashr_i32 s37, s36, 31
                                        ; implicit-def: $sgpr40_sgpr41
	s_delay_alu instid0(SALU_CYCLE_1) | instskip(NEXT) | instid1(SALU_CYCLE_1)
	s_mul_u64 s[0:1], s[36:37], s[18:19]
	s_and_b64 s[2:3], s[0:1], 0xffffffff00000000
	s_delay_alu instid0(SALU_CYCLE_1)
	s_cmp_lg_u64 s[2:3], 0
	s_mov_b32 s2, -1
	s_cbranch_scc0 .LBB12_11
; %bb.10:                               ;   in Loop: Header=BB12_9 Depth=1
	s_mul_u64 s[2:3], s[34:35], s[30:31]
	s_delay_alu instid0(SALU_CYCLE_1)
	s_mul_hi_u32 s5, s30, s3
	s_mul_i32 s4, s30, s3
	s_mul_hi_u32 s24, s30, s2
	s_mul_hi_u32 s17, s31, s2
	s_add_nc_u64 s[4:5], s[24:25], s[4:5]
	s_mul_i32 s2, s31, s2
	s_mul_hi_u32 s21, s31, s3
	s_add_co_u32 s2, s4, s2
	s_add_co_ci_u32 s24, s5, s17
	s_add_co_ci_u32 s5, s21, 0
	s_mul_i32 s4, s31, s3
	s_delay_alu instid0(SALU_CYCLE_1) | instskip(NEXT) | instid1(SALU_CYCLE_1)
	s_add_nc_u64 s[2:3], s[24:25], s[4:5]
	s_add_co_u32 s2, s30, s2
	s_cselect_b32 s4, -1, 0
	s_delay_alu instid0(SALU_CYCLE_1) | instskip(SKIP_1) | instid1(SALU_CYCLE_1)
	s_cmp_lg_u32 s4, 0
	s_add_co_ci_u32 s3, s31, s3
	s_mul_u64 s[4:5], s[34:35], s[2:3]
	s_delay_alu instid0(SALU_CYCLE_1)
	s_mul_hi_u32 s39, s2, s5
	s_mul_i32 s38, s2, s5
	s_mul_hi_u32 s24, s2, s4
	s_mul_hi_u32 s17, s3, s4
	s_mul_i32 s4, s3, s4
	s_add_nc_u64 s[38:39], s[24:25], s[38:39]
	s_mul_hi_u32 s21, s3, s5
	s_add_co_u32 s4, s38, s4
	s_add_co_ci_u32 s24, s39, s17
	s_mul_i32 s4, s3, s5
	s_add_co_ci_u32 s5, s21, 0
	s_delay_alu instid0(SALU_CYCLE_1) | instskip(NEXT) | instid1(SALU_CYCLE_1)
	s_add_nc_u64 s[4:5], s[24:25], s[4:5]
	s_add_co_u32 s17, s2, s4
	s_cselect_b32 s2, -1, 0
	s_delay_alu instid0(SALU_CYCLE_1) | instskip(SKIP_2) | instid1(SALU_CYCLE_1)
	s_cmp_lg_u32 s2, 0
	s_add_co_ci_u32 s21, s3, s5
	s_ashr_i32 s2, s1, 31
	s_mov_b32 s3, s2
	s_delay_alu instid0(SALU_CYCLE_1) | instskip(NEXT) | instid1(SALU_CYCLE_1)
	s_add_nc_u64 s[4:5], s[0:1], s[2:3]
	s_xor_b64 s[4:5], s[4:5], s[2:3]
	s_delay_alu instid0(SALU_CYCLE_1)
	s_mul_hi_u32 s39, s4, s21
	s_mul_i32 s38, s4, s21
	s_mul_hi_u32 s24, s4, s17
	s_mul_hi_u32 s29, s5, s17
	s_mul_i32 s17, s5, s17
	s_add_nc_u64 s[38:39], s[24:25], s[38:39]
	s_mul_hi_u32 s1, s5, s21
	s_add_co_u32 s17, s38, s17
	s_add_co_ci_u32 s24, s39, s29
	s_mul_i32 s40, s5, s21
	s_add_co_ci_u32 s41, s1, 0
	s_delay_alu instid0(SALU_CYCLE_1) | instskip(NEXT) | instid1(SALU_CYCLE_1)
	s_add_nc_u64 s[38:39], s[24:25], s[40:41]
	s_and_b64 s[40:41], s[38:39], 0xffffffff00000000
	s_delay_alu instid0(SALU_CYCLE_1) | instskip(NEXT) | instid1(SALU_CYCLE_1)
	s_or_b32 s40, s40, s38
	s_mul_u64 s[38:39], s[6:7], s[40:41]
	s_add_nc_u64 s[42:43], s[40:41], 1
	s_sub_co_u32 s1, s4, s38
	s_cselect_b32 s4, -1, 0
	s_sub_co_i32 s17, s5, s39
	s_cmp_lg_u32 s4, 0
	s_add_nc_u64 s[44:45], s[40:41], 2
	s_sub_co_ci_u32 s17, s17, s7
	s_sub_co_u32 s21, s1, s6
	s_cselect_b32 s24, -1, 0
	s_delay_alu instid0(SALU_CYCLE_1) | instskip(SKIP_1) | instid1(SALU_CYCLE_1)
	s_cmp_lg_u32 s24, 0
	s_sub_co_ci_u32 s17, s17, 0
	s_cmp_ge_u32 s17, s7
	s_cselect_b32 s24, -1, 0
	s_cmp_ge_u32 s21, s6
	s_cselect_b32 s21, -1, 0
	s_cmp_eq_u32 s17, s7
	s_cselect_b32 s17, s21, s24
	s_delay_alu instid0(SALU_CYCLE_1) | instskip(SKIP_4) | instid1(SALU_CYCLE_1)
	s_cmp_lg_u32 s17, 0
	s_cselect_b32 s17, s44, s42
	s_cselect_b32 s21, s45, s43
	s_cmp_lg_u32 s4, 0
	s_sub_co_ci_u32 s4, s5, s39
	s_cmp_ge_u32 s4, s7
	s_cselect_b32 s5, -1, 0
	s_cmp_ge_u32 s1, s6
	s_cselect_b32 s1, -1, 0
	s_cmp_eq_u32 s4, s7
	s_cselect_b32 s1, s1, s5
	s_delay_alu instid0(SALU_CYCLE_1) | instskip(SKIP_3) | instid1(SALU_CYCLE_1)
	s_cmp_lg_u32 s1, 0
	s_cselect_b32 s5, s21, s41
	s_cselect_b32 s4, s17, s40
	s_xor_b64 s[2:3], s[2:3], 0
	s_xor_b64 s[4:5], s[4:5], s[2:3]
	s_delay_alu instid0(SALU_CYCLE_1)
	s_sub_nc_u64 s[40:41], s[4:5], s[2:3]
	s_mov_b32 s2, 0
.LBB12_11:                              ;   in Loop: Header=BB12_9 Depth=1
	s_delay_alu instid0(SALU_CYCLE_1)
	s_and_not1_b32 vcc_lo, exec_lo, s2
	s_cbranch_vccnz .LBB12_13
; %bb.12:                               ;   in Loop: Header=BB12_9 Depth=1
	v_readfirstlane_b32 s1, v7
	s_sub_co_i32 s2, 0, s16
	s_delay_alu instid0(SALU_CYCLE_1) | instskip(NEXT) | instid1(SALU_CYCLE_1)
	s_mul_i32 s2, s2, s1
	s_mul_hi_u32 s2, s1, s2
	s_delay_alu instid0(SALU_CYCLE_1) | instskip(NEXT) | instid1(SALU_CYCLE_1)
	s_add_co_i32 s1, s1, s2
	s_mul_hi_u32 s1, s0, s1
	s_delay_alu instid0(SALU_CYCLE_1) | instskip(NEXT) | instid1(SALU_CYCLE_1)
	s_mul_i32 s2, s1, s16
	s_sub_co_i32 s0, s0, s2
	s_add_co_i32 s2, s1, 1
	s_sub_co_i32 s3, s0, s16
	s_cmp_ge_u32 s0, s16
	s_cselect_b32 s1, s2, s1
	s_cselect_b32 s0, s3, s0
	s_add_co_i32 s2, s1, 1
	s_cmp_ge_u32 s0, s16
	s_cselect_b32 s24, s2, s1
	s_delay_alu instid0(SALU_CYCLE_1)
	s_mov_b64 s[40:41], s[24:25]
.LBB12_13:                              ;   in Loop: Header=BB12_9 Depth=1
	s_delay_alu instid0(SALU_CYCLE_1)
	s_cmp_lg_u32 s20, s40
	s_mov_b32 s0, -1
                                        ; implicit-def: $vgpr4_vgpr5
                                        ; implicit-def: $sgpr24
                                        ; implicit-def: $sgpr17
                                        ; implicit-def: $sgpr21
                                        ; implicit-def: $sgpr29
	s_cbranch_scc0 .LBB12_18
; %bb.14:                               ;   in Loop: Header=BB12_9 Depth=1
	s_add_co_i32 s0, s36, s16
	v_max_num_f32_e64 v4, s28, s28
	s_lshl_b32 s0, s0, 1
	s_mov_b32 s29, s20
	s_add_co_i32 s0, s0, s15
	s_load_b64 s[38:39], s[10:11], s0 offset:0x0 scale_offset
	s_wait_xcnt 0x0
	v_readfirstlane_b32 s0, v4
	s_wait_kmcnt 0x0
	v_max_num_f32_e64 v5, s38, s38
	s_delay_alu instid0(VALU_DEP_1) | instskip(SKIP_1) | instid1(SALU_CYCLE_3)
	v_readfirstlane_b32 s1, v5
	s_max_num_f32 s17, s0, s1
	s_sub_f32 s33, s28, s17
	s_sub_f32 s37, s38, s17
	s_delay_alu instid0(SALU_CYCLE_2)
	s_cmp_nlt_f32 s33, 0xc2ce8ed0
	s_cselect_b32 s1, -1, 0
	s_cmp_ngt_f32 s33, 0x42b17218
	s_cselect_b32 s2, -1, 0
	s_cmp_ge_f32 s33, 0xc1a00000
	s_cselect_b32 s0, -1, 0
	s_cmp_nlt_f32 s37, 0xc2ce8ed0
	s_cselect_b32 s3, -1, 0
	s_cmp_ngt_f32 s37, 0x42b17218
	s_cselect_b32 s4, -1, 0
	s_cmp_ge_f32 s37, 0xc1a00000
	s_cselect_b32 s5, -1, 0
	s_and_b64 s[42:43], s[40:41], s[8:9]
	s_delay_alu instid0(SALU_CYCLE_1) | instskip(NEXT) | instid1(SALU_CYCLE_1)
	s_mul_u64 s[42:43], s[42:43], s[22:23]
	s_add_co_i32 s21, s43, s40
	s_delay_alu instid0(SALU_CYCLE_1) | instskip(NEXT) | instid1(SALU_CYCLE_1)
	s_lshr_b32 s21, s21, s13
	s_mul_i32 s24, s21, s14
	s_delay_alu instid0(SALU_CYCLE_1) | instskip(SKIP_3) | instid1(SALU_CYCLE_1)
	s_cmp_eq_u32 s24, s40
	s_cselect_b32 s24, -1, 0
	s_cmp_lt_u32 s21, s12
	s_cselect_b32 s21, -1, 0
	s_or_b32 s21, s21, s24
	s_mov_b32 s24, -1
	s_and_b32 vcc_lo, exec_lo, s21
	s_mov_b32 s21, s36
	s_cbranch_vccnz .LBB12_16
; %bb.15:                               ;   in Loop: Header=BB12_9 Depth=1
	s_add_co_i32 s21, s36, -1
	s_mov_b32 s24, 0
	s_mov_b32 s29, s40
.LBB12_16:                              ;   in Loop: Header=BB12_9 Depth=1
	v_lshl_add_u32 v4, s36, 7, v6
	s_mul_f32 s40, s33, 0x3fb8aa3b
	s_mul_f32 s38, s37, 0x3fb8aa3b
	s_delay_alu instid0(SALU_CYCLE_2)
	s_xor_b32 s42, s40, 0x80000000
	global_load_b32 v5, v4, s[26:27] scale_offset
	s_fmamk_f32 s42, s33, 0x3fb8aa3b, s42
	s_rndne_f32 s44, s40
	s_xor_b32 s41, s38, 0x80000000
	s_rndne_f32 s43, s38
	s_fmamk_f32 s33, s33, 0x32a5705f, s42
	s_sub_f32 s40, s40, s44
	s_fmamk_f32 s41, s37, 0x3fb8aa3b, s41
	s_sub_f32 s38, s38, s43
	s_delay_alu instid0(SALU_CYCLE_1) | instskip(NEXT) | instid1(SALU_CYCLE_1)
	s_add_f32 s33, s40, s33
	s_fmamk_f32 s37, s37, 0x32a5705f, s41
	s_cvt_i32_f32 s40, s44
	s_delay_alu instid0(SALU_CYCLE_1) | instskip(NEXT) | instid1(SALU_CYCLE_1)
	v_s_exp_f32 s33, s33
	s_add_f32 s37, s38, s37
	s_cvt_i32_f32 s38, s43
	s_delay_alu instid0(SALU_CYCLE_2) | instskip(NEXT) | instid1(TRANS32_DEP_2)
	v_s_exp_f32 s37, s37
	v_ldexp_f32 v8, s33, s40
	s_wait_xcnt 0x0
	s_delay_alu instid0(TRANS32_DEP_1) | instskip(NEXT) | instid1(VALU_DEP_2)
	v_ldexp_f32 v4, s37, s38
	v_cndmask_b32_e64 v8, 0, v8, s1
	s_delay_alu instid0(VALU_DEP_1) | instskip(NEXT) | instid1(VALU_DEP_1)
	v_cndmask_b32_e64 v9, 0x7f800000, v8, s2
	v_dual_cndmask_b32 v4, 0, v4, s3 :: v_dual_cndmask_b32 v10, 0, v9, s0
	s_delay_alu instid0(VALU_DEP_1) | instskip(NEXT) | instid1(VALU_DEP_1)
	v_cndmask_b32_e64 v4, 0x7f800000, v4, s4
	v_dual_cndmask_b32 v8, 0, v4, s5 :: v_dual_mov_b32 v4, s39
	s_wait_loadcnt 0x0
	s_delay_alu instid0(VALU_DEP_1) | instskip(NEXT) | instid1(VALU_DEP_1)
	v_pk_mul_f32 v[4:5], v[4:5], v[8:9] op_sel_hi:[1,0]
	v_pk_fma_f32 v[4:5], v[0:1], v[10:11], v[4:5] op_sel_hi:[1,0,1]
	s_cbranch_execz .LBB12_19
.LBB12_17:                              ;   in Loop: Header=BB12_9 Depth=1
	s_and_not1_b32 vcc_lo, exec_lo, s24
	s_cbranch_vccnz .LBB12_20
	s_branch .LBB12_23
.LBB12_18:                              ;   in Loop: Header=BB12_9 Depth=1
	s_and_not1_b32 vcc_lo, exec_lo, s0
	s_cbranch_vccnz .LBB12_17
.LBB12_19:                              ;   in Loop: Header=BB12_9 Depth=1
	s_wait_loadcnt 0x0
	v_mov_b64_e32 v[4:5], v[0:1]
	s_add_co_i32 s21, s36, -1
	s_mov_b32 s29, s20
	s_mov_b32 s17, s28
	s_cbranch_execz .LBB12_23
.LBB12_20:                              ;   in Loop: Header=BB12_9 Depth=1
	s_wait_loadcnt 0x0
	s_delay_alu instid0(VALU_DEP_1)
	v_mov_b64_e32 v[0:1], v[4:5]
	s_mov_b32 s20, s29
	s_mov_b32 s36, s21
	;; [unrolled: 1-line block ×3, first 2 shown]
	s_branch .LBB12_9
.LBB12_21:
                                        ; implicit-def: $sgpr20_sgpr21
	s_branch .LBB12_2
.LBB12_22:
                                        ; implicit-def: $sgpr24_sgpr25
	s_load_b96 s[12:14], s[0:1], 0x44
	s_branch .LBB12_5
.LBB12_23:
	s_delay_alu instid0(VALU_DEP_1) | instskip(SKIP_1) | instid1(VALU_DEP_1)
	v_div_scale_f32 v0, null, v4, v4, v5
	s_wait_loadcnt 0x0
	v_rcp_f32_e32 v1, v0
	v_nop
	s_delay_alu instid0(TRANS32_DEP_1) | instskip(NEXT) | instid1(VALU_DEP_1)
	v_fma_f32 v6, -v0, v1, 1.0
	v_fmac_f32_e32 v1, v6, v1
	v_div_scale_f32 v6, vcc_lo, v5, v4, v5
	s_delay_alu instid0(VALU_DEP_1) | instskip(NEXT) | instid1(VALU_DEP_1)
	v_mul_f32_e32 v7, v6, v1
	v_fma_f32 v8, -v0, v7, v6
	s_delay_alu instid0(VALU_DEP_1) | instskip(NEXT) | instid1(VALU_DEP_1)
	v_fmac_f32_e32 v7, v8, v1
	v_fma_f32 v0, -v0, v7, v6
	s_delay_alu instid0(VALU_DEP_1) | instskip(NEXT) | instid1(VALU_DEP_1)
	v_div_fmas_f32 v0, v0, v1, v7
	v_div_fixup_f32 v0, v0, v4, v5
	global_store_b32 v[2:3], v0, off
.LBB12_24:
	s_endpgm
	.section	.rodata,"a",@progbits
	.p2align	6, 0x0
	.amdhsa_kernel _ZL33flash_attn_stream_k_fixup_generalILi64ELi2ELi1EEvPfPK15HIP_vector_typeIfLj2EEiiiiS1_IjLj3EES5_S5_S5_
		.amdhsa_group_segment_fixed_size 0
		.amdhsa_private_segment_fixed_size 0
		.amdhsa_kernarg_size 336
		.amdhsa_user_sgpr_count 2
		.amdhsa_user_sgpr_dispatch_ptr 0
		.amdhsa_user_sgpr_queue_ptr 0
		.amdhsa_user_sgpr_kernarg_segment_ptr 1
		.amdhsa_user_sgpr_dispatch_id 0
		.amdhsa_user_sgpr_kernarg_preload_length 0
		.amdhsa_user_sgpr_kernarg_preload_offset 0
		.amdhsa_user_sgpr_private_segment_size 0
		.amdhsa_wavefront_size32 1
		.amdhsa_uses_dynamic_stack 0
		.amdhsa_enable_private_segment 0
		.amdhsa_system_sgpr_workgroup_id_x 1
		.amdhsa_system_sgpr_workgroup_id_y 1
		.amdhsa_system_sgpr_workgroup_id_z 1
		.amdhsa_system_sgpr_workgroup_info 0
		.amdhsa_system_vgpr_workitem_id 0
		.amdhsa_next_free_vgpr 12
		.amdhsa_next_free_sgpr 46
		.amdhsa_named_barrier_count 0
		.amdhsa_reserve_vcc 1
		.amdhsa_float_round_mode_32 0
		.amdhsa_float_round_mode_16_64 0
		.amdhsa_float_denorm_mode_32 3
		.amdhsa_float_denorm_mode_16_64 3
		.amdhsa_fp16_overflow 0
		.amdhsa_memory_ordered 1
		.amdhsa_forward_progress 1
		.amdhsa_inst_pref_size 27
		.amdhsa_round_robin_scheduling 0
		.amdhsa_exception_fp_ieee_invalid_op 0
		.amdhsa_exception_fp_denorm_src 0
		.amdhsa_exception_fp_ieee_div_zero 0
		.amdhsa_exception_fp_ieee_overflow 0
		.amdhsa_exception_fp_ieee_underflow 0
		.amdhsa_exception_fp_ieee_inexact 0
		.amdhsa_exception_int_div_zero 0
	.end_amdhsa_kernel
	.section	.text._ZL33flash_attn_stream_k_fixup_generalILi64ELi2ELi1EEvPfPK15HIP_vector_typeIfLj2EEiiiiS1_IjLj3EES5_S5_S5_,"axG",@progbits,_ZL33flash_attn_stream_k_fixup_generalILi64ELi2ELi1EEvPfPK15HIP_vector_typeIfLj2EEiiiiS1_IjLj3EES5_S5_S5_,comdat
.Lfunc_end12:
	.size	_ZL33flash_attn_stream_k_fixup_generalILi64ELi2ELi1EEvPfPK15HIP_vector_typeIfLj2EEiiiiS1_IjLj3EES5_S5_S5_, .Lfunc_end12-_ZL33flash_attn_stream_k_fixup_generalILi64ELi2ELi1EEvPfPK15HIP_vector_typeIfLj2EEiiiiS1_IjLj3EES5_S5_S5_
                                        ; -- End function
	.set _ZL33flash_attn_stream_k_fixup_generalILi64ELi2ELi1EEvPfPK15HIP_vector_typeIfLj2EEiiiiS1_IjLj3EES5_S5_S5_.num_vgpr, 12
	.set _ZL33flash_attn_stream_k_fixup_generalILi64ELi2ELi1EEvPfPK15HIP_vector_typeIfLj2EEiiiiS1_IjLj3EES5_S5_S5_.num_agpr, 0
	.set _ZL33flash_attn_stream_k_fixup_generalILi64ELi2ELi1EEvPfPK15HIP_vector_typeIfLj2EEiiiiS1_IjLj3EES5_S5_S5_.numbered_sgpr, 46
	.set _ZL33flash_attn_stream_k_fixup_generalILi64ELi2ELi1EEvPfPK15HIP_vector_typeIfLj2EEiiiiS1_IjLj3EES5_S5_S5_.num_named_barrier, 0
	.set _ZL33flash_attn_stream_k_fixup_generalILi64ELi2ELi1EEvPfPK15HIP_vector_typeIfLj2EEiiiiS1_IjLj3EES5_S5_S5_.private_seg_size, 0
	.set _ZL33flash_attn_stream_k_fixup_generalILi64ELi2ELi1EEvPfPK15HIP_vector_typeIfLj2EEiiiiS1_IjLj3EES5_S5_S5_.uses_vcc, 1
	.set _ZL33flash_attn_stream_k_fixup_generalILi64ELi2ELi1EEvPfPK15HIP_vector_typeIfLj2EEiiiiS1_IjLj3EES5_S5_S5_.uses_flat_scratch, 0
	.set _ZL33flash_attn_stream_k_fixup_generalILi64ELi2ELi1EEvPfPK15HIP_vector_typeIfLj2EEiiiiS1_IjLj3EES5_S5_S5_.has_dyn_sized_stack, 0
	.set _ZL33flash_attn_stream_k_fixup_generalILi64ELi2ELi1EEvPfPK15HIP_vector_typeIfLj2EEiiiiS1_IjLj3EES5_S5_S5_.has_recursion, 0
	.set _ZL33flash_attn_stream_k_fixup_generalILi64ELi2ELi1EEvPfPK15HIP_vector_typeIfLj2EEiiiiS1_IjLj3EES5_S5_S5_.has_indirect_call, 0
	.section	.AMDGPU.csdata,"",@progbits
; Kernel info:
; codeLenInByte = 3352
; TotalNumSgprs: 48
; NumVgprs: 12
; ScratchSize: 0
; MemoryBound: 0
; FloatMode: 240
; IeeeMode: 1
; LDSByteSize: 0 bytes/workgroup (compile time only)
; SGPRBlocks: 0
; VGPRBlocks: 0
; NumSGPRsForWavesPerEU: 48
; NumVGPRsForWavesPerEU: 12
; NamedBarCnt: 0
; Occupancy: 16
; WaveLimiterHint : 0
; COMPUTE_PGM_RSRC2:SCRATCH_EN: 0
; COMPUTE_PGM_RSRC2:USER_SGPR: 2
; COMPUTE_PGM_RSRC2:TRAP_HANDLER: 0
; COMPUTE_PGM_RSRC2:TGID_X_EN: 1
; COMPUTE_PGM_RSRC2:TGID_Y_EN: 1
; COMPUTE_PGM_RSRC2:TGID_Z_EN: 1
; COMPUTE_PGM_RSRC2:TIDIG_COMP_CNT: 0
	.section	.text._ZL18flash_attn_ext_vecILi64ELi2EL9ggml_type1ELS0_1ELb1EEvPKcS2_S2_S2_S2_PKiPfP15HIP_vector_typeIfLj2EEffffjfiS6_IjLj3EEiiiiiiiiiiiliiliiiiil,"axG",@progbits,_ZL18flash_attn_ext_vecILi64ELi2EL9ggml_type1ELS0_1ELb1EEvPKcS2_S2_S2_S2_PKiPfP15HIP_vector_typeIfLj2EEffffjfiS6_IjLj3EEiiiiiiiiiiiliiliiiiil,comdat
	.globl	_ZL18flash_attn_ext_vecILi64ELi2EL9ggml_type1ELS0_1ELb1EEvPKcS2_S2_S2_S2_PKiPfP15HIP_vector_typeIfLj2EEffffjfiS6_IjLj3EEiiiiiiiiiiiliiliiiiil ; -- Begin function _ZL18flash_attn_ext_vecILi64ELi2EL9ggml_type1ELS0_1ELb1EEvPKcS2_S2_S2_S2_PKiPfP15HIP_vector_typeIfLj2EEffffjfiS6_IjLj3EEiiiiiiiiiiiliiliiiiil
	.p2align	8
	.type	_ZL18flash_attn_ext_vecILi64ELi2EL9ggml_type1ELS0_1ELb1EEvPKcS2_S2_S2_S2_PKiPfP15HIP_vector_typeIfLj2EEffffjfiS6_IjLj3EEiiiiiiiiiiiliiliiiiil,@function
_ZL18flash_attn_ext_vecILi64ELi2EL9ggml_type1ELS0_1ELb1EEvPKcS2_S2_S2_S2_PKiPfP15HIP_vector_typeIfLj2EEffffjfiS6_IjLj3EEiiiiiiiiiiiliiliiiiil: ; @_ZL18flash_attn_ext_vecILi64ELi2EL9ggml_type1ELS0_1ELb1EEvPKcS2_S2_S2_S2_PKiPfP15HIP_vector_typeIfLj2EEffffjfiS6_IjLj3EEiiiiiiiiiiiliiliiiiil
; %bb.0:
	s_get_pc_i64 s[2:3]
	s_add_nc_u64 s[2:3], s[2:3], _ZL14no_device_codePKciS0_iS0_@rel64+4
	s_add_nc_u64 s[8:9], s[0:1], 0xd0
	s_mov_b32 s32, 0
	s_swap_pc_i64 s[30:31], s[2:3]
	.section	.rodata,"a",@progbits
	.p2align	6, 0x0
	.amdhsa_kernel _ZL18flash_attn_ext_vecILi64ELi2EL9ggml_type1ELS0_1ELb1EEvPKcS2_S2_S2_S2_PKiPfP15HIP_vector_typeIfLj2EEffffjfiS6_IjLj3EEiiiiiiiiiiiliiliiiiil
		.amdhsa_group_segment_fixed_size 0
		.amdhsa_private_segment_fixed_size 16
		.amdhsa_kernarg_size 464
		.amdhsa_user_sgpr_count 2
		.amdhsa_user_sgpr_dispatch_ptr 0
		.amdhsa_user_sgpr_queue_ptr 0
		.amdhsa_user_sgpr_kernarg_segment_ptr 1
		.amdhsa_user_sgpr_dispatch_id 0
		.amdhsa_user_sgpr_kernarg_preload_length 0
		.amdhsa_user_sgpr_kernarg_preload_offset 0
		.amdhsa_user_sgpr_private_segment_size 0
		.amdhsa_wavefront_size32 1
		.amdhsa_uses_dynamic_stack 0
		.amdhsa_enable_private_segment 1
		.amdhsa_system_sgpr_workgroup_id_x 1
		.amdhsa_system_sgpr_workgroup_id_y 0
		.amdhsa_system_sgpr_workgroup_id_z 0
		.amdhsa_system_sgpr_workgroup_info 0
		.amdhsa_system_vgpr_workitem_id 0
		.amdhsa_next_free_vgpr 50
		.amdhsa_next_free_sgpr 34
		.amdhsa_named_barrier_count 0
		.amdhsa_reserve_vcc 1
		.amdhsa_float_round_mode_32 0
		.amdhsa_float_round_mode_16_64 0
		.amdhsa_float_denorm_mode_32 3
		.amdhsa_float_denorm_mode_16_64 3
		.amdhsa_fp16_overflow 0
		.amdhsa_memory_ordered 1
		.amdhsa_forward_progress 1
		.amdhsa_inst_pref_size 1
		.amdhsa_round_robin_scheduling 0
		.amdhsa_exception_fp_ieee_invalid_op 0
		.amdhsa_exception_fp_denorm_src 0
		.amdhsa_exception_fp_ieee_div_zero 0
		.amdhsa_exception_fp_ieee_overflow 0
		.amdhsa_exception_fp_ieee_underflow 0
		.amdhsa_exception_fp_ieee_inexact 0
		.amdhsa_exception_int_div_zero 0
	.end_amdhsa_kernel
	.section	.text._ZL18flash_attn_ext_vecILi64ELi2EL9ggml_type1ELS0_1ELb1EEvPKcS2_S2_S2_S2_PKiPfP15HIP_vector_typeIfLj2EEffffjfiS6_IjLj3EEiiiiiiiiiiiliiliiiiil,"axG",@progbits,_ZL18flash_attn_ext_vecILi64ELi2EL9ggml_type1ELS0_1ELb1EEvPKcS2_S2_S2_S2_PKiPfP15HIP_vector_typeIfLj2EEffffjfiS6_IjLj3EEiiiiiiiiiiiliiliiiiil,comdat
.Lfunc_end13:
	.size	_ZL18flash_attn_ext_vecILi64ELi2EL9ggml_type1ELS0_1ELb1EEvPKcS2_S2_S2_S2_PKiPfP15HIP_vector_typeIfLj2EEffffjfiS6_IjLj3EEiiiiiiiiiiiliiliiiiil, .Lfunc_end13-_ZL18flash_attn_ext_vecILi64ELi2EL9ggml_type1ELS0_1ELb1EEvPKcS2_S2_S2_S2_PKiPfP15HIP_vector_typeIfLj2EEffffjfiS6_IjLj3EEiiiiiiiiiiiliiliiiiil
                                        ; -- End function
	.set _ZL18flash_attn_ext_vecILi64ELi2EL9ggml_type1ELS0_1ELb1EEvPKcS2_S2_S2_S2_PKiPfP15HIP_vector_typeIfLj2EEffffjfiS6_IjLj3EEiiiiiiiiiiiliiliiiiil.num_vgpr, max(0, .L_ZL14no_device_codePKciS0_iS0_.num_vgpr)
	.set _ZL18flash_attn_ext_vecILi64ELi2EL9ggml_type1ELS0_1ELb1EEvPKcS2_S2_S2_S2_PKiPfP15HIP_vector_typeIfLj2EEffffjfiS6_IjLj3EEiiiiiiiiiiiliiliiiiil.num_agpr, max(0, .L_ZL14no_device_codePKciS0_iS0_.num_agpr)
	.set _ZL18flash_attn_ext_vecILi64ELi2EL9ggml_type1ELS0_1ELb1EEvPKcS2_S2_S2_S2_PKiPfP15HIP_vector_typeIfLj2EEffffjfiS6_IjLj3EEiiiiiiiiiiiliiliiiiil.numbered_sgpr, max(33, .L_ZL14no_device_codePKciS0_iS0_.numbered_sgpr)
	.set _ZL18flash_attn_ext_vecILi64ELi2EL9ggml_type1ELS0_1ELb1EEvPKcS2_S2_S2_S2_PKiPfP15HIP_vector_typeIfLj2EEffffjfiS6_IjLj3EEiiiiiiiiiiiliiliiiiil.num_named_barrier, max(0, .L_ZL14no_device_codePKciS0_iS0_.num_named_barrier)
	.set _ZL18flash_attn_ext_vecILi64ELi2EL9ggml_type1ELS0_1ELb1EEvPKcS2_S2_S2_S2_PKiPfP15HIP_vector_typeIfLj2EEffffjfiS6_IjLj3EEiiiiiiiiiiiliiliiiiil.private_seg_size, 0+max(.L_ZL14no_device_codePKciS0_iS0_.private_seg_size)
	.set _ZL18flash_attn_ext_vecILi64ELi2EL9ggml_type1ELS0_1ELb1EEvPKcS2_S2_S2_S2_PKiPfP15HIP_vector_typeIfLj2EEffffjfiS6_IjLj3EEiiiiiiiiiiiliiliiiiil.uses_vcc, or(1, .L_ZL14no_device_codePKciS0_iS0_.uses_vcc)
	.set _ZL18flash_attn_ext_vecILi64ELi2EL9ggml_type1ELS0_1ELb1EEvPKcS2_S2_S2_S2_PKiPfP15HIP_vector_typeIfLj2EEffffjfiS6_IjLj3EEiiiiiiiiiiiliiliiiiil.uses_flat_scratch, or(0, .L_ZL14no_device_codePKciS0_iS0_.uses_flat_scratch)
	.set _ZL18flash_attn_ext_vecILi64ELi2EL9ggml_type1ELS0_1ELb1EEvPKcS2_S2_S2_S2_PKiPfP15HIP_vector_typeIfLj2EEffffjfiS6_IjLj3EEiiiiiiiiiiiliiliiiiil.has_dyn_sized_stack, or(0, .L_ZL14no_device_codePKciS0_iS0_.has_dyn_sized_stack)
	.set _ZL18flash_attn_ext_vecILi64ELi2EL9ggml_type1ELS0_1ELb1EEvPKcS2_S2_S2_S2_PKiPfP15HIP_vector_typeIfLj2EEffffjfiS6_IjLj3EEiiiiiiiiiiiliiliiiiil.has_recursion, or(0, .L_ZL14no_device_codePKciS0_iS0_.has_recursion)
	.set _ZL18flash_attn_ext_vecILi64ELi2EL9ggml_type1ELS0_1ELb1EEvPKcS2_S2_S2_S2_PKiPfP15HIP_vector_typeIfLj2EEffffjfiS6_IjLj3EEiiiiiiiiiiiliiliiiiil.has_indirect_call, or(0, .L_ZL14no_device_codePKciS0_iS0_.has_indirect_call)
	.section	.AMDGPU.csdata,"",@progbits
; Kernel info:
; codeLenInByte = 32
; TotalNumSgprs: 36
; NumVgprs: 50
; ScratchSize: 16
; MemoryBound: 0
; FloatMode: 240
; IeeeMode: 1
; LDSByteSize: 0 bytes/workgroup (compile time only)
; SGPRBlocks: 0
; VGPRBlocks: 3
; NumSGPRsForWavesPerEU: 36
; NumVGPRsForWavesPerEU: 50
; NamedBarCnt: 0
; Occupancy: 16
; WaveLimiterHint : 1
; COMPUTE_PGM_RSRC2:SCRATCH_EN: 1
; COMPUTE_PGM_RSRC2:USER_SGPR: 2
; COMPUTE_PGM_RSRC2:TRAP_HANDLER: 0
; COMPUTE_PGM_RSRC2:TGID_X_EN: 1
; COMPUTE_PGM_RSRC2:TGID_Y_EN: 0
; COMPUTE_PGM_RSRC2:TGID_Z_EN: 0
; COMPUTE_PGM_RSRC2:TIDIG_COMP_CNT: 0
	.section	.text._ZL18flash_attn_ext_vecILi128ELi1EL9ggml_type1ELS0_1ELb0EEvPKcS2_S2_S2_S2_PKiPfP15HIP_vector_typeIfLj2EEffffjfiS6_IjLj3EEiiiiiiiiiiiliiliiiiil,"axG",@progbits,_ZL18flash_attn_ext_vecILi128ELi1EL9ggml_type1ELS0_1ELb0EEvPKcS2_S2_S2_S2_PKiPfP15HIP_vector_typeIfLj2EEffffjfiS6_IjLj3EEiiiiiiiiiiiliiliiiiil,comdat
	.globl	_ZL18flash_attn_ext_vecILi128ELi1EL9ggml_type1ELS0_1ELb0EEvPKcS2_S2_S2_S2_PKiPfP15HIP_vector_typeIfLj2EEffffjfiS6_IjLj3EEiiiiiiiiiiiliiliiiiil ; -- Begin function _ZL18flash_attn_ext_vecILi128ELi1EL9ggml_type1ELS0_1ELb0EEvPKcS2_S2_S2_S2_PKiPfP15HIP_vector_typeIfLj2EEffffjfiS6_IjLj3EEiiiiiiiiiiiliiliiiiil
	.p2align	8
	.type	_ZL18flash_attn_ext_vecILi128ELi1EL9ggml_type1ELS0_1ELb0EEvPKcS2_S2_S2_S2_PKiPfP15HIP_vector_typeIfLj2EEffffjfiS6_IjLj3EEiiiiiiiiiiiliiliiiiil,@function
_ZL18flash_attn_ext_vecILi128ELi1EL9ggml_type1ELS0_1ELb0EEvPKcS2_S2_S2_S2_PKiPfP15HIP_vector_typeIfLj2EEffffjfiS6_IjLj3EEiiiiiiiiiiiliiliiiiil: ; @_ZL18flash_attn_ext_vecILi128ELi1EL9ggml_type1ELS0_1ELb0EEvPKcS2_S2_S2_S2_PKiPfP15HIP_vector_typeIfLj2EEffffjfiS6_IjLj3EEiiiiiiiiiiiliiliiiiil
; %bb.0:
	s_clause 0x2
	s_load_b64 s[24:25], s[0:1], 0x64
	s_load_b64 s[28:29], s[0:1], 0x80
	;; [unrolled: 1-line block ×3, first 2 shown]
	s_bfe_u32 s6, ttmp6, 0x40014
	s_lshr_b32 s5, ttmp7, 16
	s_add_co_i32 s6, s6, 1
	s_bfe_u32 s7, ttmp6, 0x40008
	s_mul_i32 s6, s5, s6
	s_getreg_b32 s27, hwreg(HW_REG_IB_STS2, 6, 4)
	s_add_co_i32 s7, s7, s6
	s_load_b128 s[20:23], s[0:1], 0x40
	v_mov_b32_e32 v46, 1.0
	s_mov_b32 s35, 0
	s_wait_kmcnt 0x0
	s_cvt_f32_u32 s4, s25
	s_sub_co_i32 s8, 0, s25
	s_delay_alu instid0(SALU_CYCLE_2) | instskip(SKIP_1) | instid1(TRANS32_DEP_1)
	v_rcp_iflag_f32_e32 v1, s4
	v_nop
	v_readfirstlane_b32 s4, v1
	s_mul_f32 s4, s4, 0x4f7ffffe
	s_delay_alu instid0(SALU_CYCLE_3) | instskip(NEXT) | instid1(SALU_CYCLE_3)
	s_cvt_u32_f32 s4, s4
	s_mul_i32 s8, s8, s4
	s_delay_alu instid0(SALU_CYCLE_1) | instskip(NEXT) | instid1(SALU_CYCLE_1)
	s_mul_hi_u32 s8, s4, s8
	s_add_co_i32 s4, s4, s8
	s_cmp_eq_u32 s27, 0
	s_cselect_b32 s5, s5, s7
	s_delay_alu instid0(SALU_CYCLE_1) | instskip(NEXT) | instid1(SALU_CYCLE_1)
	s_mul_hi_u32 s4, s5, s4
	s_mul_i32 s6, s4, s25
	s_add_co_i32 s7, s4, 1
	s_sub_co_i32 s6, s5, s6
	s_delay_alu instid0(SALU_CYCLE_1)
	s_sub_co_i32 s8, s6, s25
	s_cmp_ge_u32 s6, s25
	s_cselect_b32 s4, s7, s4
	s_cselect_b32 s6, s8, s6
	s_add_co_i32 s7, s4, 1
	s_cmp_ge_u32 s6, s25
	s_cselect_b32 s26, s7, s4
	s_abs_i32 s4, s29
	s_abs_i32 s9, s25
	s_cvt_f32_u32 s6, s4
	s_sub_co_i32 s7, 0, s4
	s_xor_b32 s8, s25, s29
	s_delay_alu instid0(SALU_CYCLE_1) | instskip(SKIP_2) | instid1(TRANS32_DEP_1)
	v_rcp_iflag_f32_e32 v1, s6
	s_ashr_i32 s8, s8, 31
	v_nop
	v_readfirstlane_b32 s6, v1
	s_mul_f32 s6, s6, 0x4f7ffffe
	s_delay_alu instid0(SALU_CYCLE_3) | instskip(NEXT) | instid1(SALU_CYCLE_3)
	s_cvt_u32_f32 s6, s6
	s_mul_i32 s7, s7, s6
	s_delay_alu instid0(SALU_CYCLE_1) | instskip(NEXT) | instid1(SALU_CYCLE_1)
	s_mul_hi_u32 s7, s6, s7
	s_add_co_i32 s6, s6, s7
	s_mul_i32 s7, s26, s25
	s_mul_hi_u32 s6, s9, s6
	s_sub_co_i32 s29, s5, s7
	s_mul_i32 s10, s6, s4
	s_add_co_i32 s7, s6, 1
	s_sub_co_i32 s5, s9, s10
	s_delay_alu instid0(SALU_CYCLE_1)
	s_sub_co_i32 s9, s5, s4
	s_cmp_ge_u32 s5, s4
	s_cselect_b32 s6, s7, s6
	s_cselect_b32 s5, s9, s5
	s_add_co_i32 s7, s6, 1
	s_cmp_ge_u32 s5, s4
	s_cselect_b32 s4, s7, s6
	s_abs_i32 s2, s2
	s_xor_b32 s5, s4, s8
	s_load_b32 s4, s[0:1], 0x50
	s_sub_co_i32 s30, s5, s8
	s_cvt_f32_u32 s5, s2
	s_abs_i32 s36, s30
	s_cmp_le_f32 s21, 0
	s_cvt_f32_u32 s6, s36
	v_rcp_iflag_f32_e32 v1, s5
	s_delay_alu instid0(SALU_CYCLE_2) | instskip(NEXT) | instid1(TRANS32_DEP_2)
	v_rcp_iflag_f32_e32 v2, s6
	v_readfirstlane_b32 s21, v1
	s_delay_alu instid0(TRANS32_DEP_1)
	v_readfirstlane_b32 s31, v2
	s_cbranch_scc1 .LBB14_2
; %bb.1:
	s_wait_kmcnt 0x0
	v_sub_co_u32 v1, s4, s29, s4
	s_and_b32 s6, s4, exec_lo
	s_cselect_b32 s6, s22, s23
	s_add_co_i32 s7, s29, 1
	v_readfirstlane_b32 s5, v1
	s_lshl_b32 s5, s5, 1
	s_delay_alu instid0(SALU_CYCLE_1) | instskip(SKIP_4) | instid1(SALU_CYCLE_3)
	s_or_b32 s5, s5, 1
	s_and_b32 s4, s4, exec_lo
	s_cselect_b32 s4, s7, s5
	s_cmp_neq_f32 s6, 1.0
	s_cvt_f32_i32 s4, s4
	s_cselect_b32 s5, s4, 1.0
	s_delay_alu instid0(SALU_CYCLE_1) | instskip(SKIP_1) | instid1(SALU_CYCLE_1)
	s_cmp_neq_f32 s5, 0
	s_cselect_b32 s4, s6, 1.0
	v_cvt_f64_f32_e64 v[2:3], |s4|
	s_delay_alu instid0(VALU_DEP_1) | instskip(SKIP_1) | instid1(VALU_DEP_1)
	v_frexp_exp_i32_f64_e32 v1, v[2:3]
	v_frexp_mant_f32_e64 v2, |s4|
	v_readfirstlane_b32 s6, v2
	s_cmp_lt_f32 s6, 0x3f2aaaab
	s_cselect_b32 vcc_lo, -1, 0
	s_delay_alu instid0(SALU_CYCLE_1) | instskip(SKIP_1) | instid1(SALU_CYCLE_1)
	s_and_b32 s7, vcc_lo, exec_lo
	s_cselect_b32 s7, 2.0, 1.0
	s_mul_f32 s6, s6, s7
	s_delay_alu instid0(SALU_CYCLE_3) | instskip(SKIP_1) | instid1(SALU_CYCLE_2)
	s_add_f32 s7, s6, 1.0
	s_add_f32 s9, s6, -1.0
	v_s_rcp_f32 s8, s7
	s_add_f32 s12, s7, -1.0
	v_subrev_co_ci_u32_e64 v1, null, 0, v1, vcc_lo
	s_delay_alu instid0(SALU_CYCLE_2) | instskip(NEXT) | instid1(TRANS32_DEP_1)
	s_sub_f32 s6, s6, s12
	s_mul_f32 s10, s9, s8
	v_cvt_f32_i32_e32 v1, v1
	s_delay_alu instid0(SALU_CYCLE_2) | instskip(NEXT) | instid1(SALU_CYCLE_3)
	s_mul_f32 s11, s7, s10
	v_dual_mov_b32 v3, s9 :: v_dual_mov_b32 v4, s11
	s_xor_b32 s13, s11, 0x80000000
	s_delay_alu instid0(SALU_CYCLE_1) | instskip(NEXT) | instid1(SALU_CYCLE_3)
	s_fmac_f32 s13, s10, s7
	s_fmac_f32 s13, s10, s6
	s_delay_alu instid0(SALU_CYCLE_3) | instskip(SKIP_2) | instid1(SALU_CYCLE_1)
	s_add_f32 s6, s11, s13
	v_mov_b32_e32 v6, s13
	s_mov_b32 s11, 0x3e76c4e1
	s_sub_f32 s7, s9, s6
	v_dual_mov_b32 v2, s6 :: v_dual_mov_b32 v7, s6
	s_delay_alu instid0(SALU_CYCLE_2) | instskip(NEXT) | instid1(VALU_DEP_1)
	v_mov_b32_e32 v5, s7
	v_pk_add_f32 v[2:3], v[2:3], v[4:5] neg_lo:[0,1] neg_hi:[0,1]
	s_delay_alu instid0(VALU_DEP_1) | instskip(NEXT) | instid1(VALU_DEP_1)
	v_pk_add_f32 v[2:3], v[2:3], v[6:7] neg_lo:[0,1] neg_hi:[0,1]
	v_readfirstlane_b32 s6, v3
	s_delay_alu instid0(VALU_DEP_2) | instskip(SKIP_1) | instid1(SALU_CYCLE_3)
	v_readfirstlane_b32 s9, v2
	s_add_f32 s6, s9, s6
	s_add_f32 s6, s7, s6
	s_delay_alu instid0(SALU_CYCLE_3) | instskip(NEXT) | instid1(SALU_CYCLE_3)
	s_mul_f32 s7, s8, s6
	s_add_f32 s6, s10, s7
	s_delay_alu instid0(SALU_CYCLE_3) | instskip(SKIP_1) | instid1(SALU_CYCLE_2)
	s_sub_f32 s8, s6, s10
	s_mul_f32 s9, s6, s6
	s_sub_f32 s10, s7, s8
	s_delay_alu instid0(SALU_CYCLE_2) | instskip(NEXT) | instid1(SALU_CYCLE_1)
	s_xor_b32 s7, s9, 0x80000000
	s_fmac_f32 s7, s6, s6
	s_delay_alu instid0(SALU_CYCLE_1) | instskip(NEXT) | instid1(SALU_CYCLE_3)
	s_add_f32 s8, s10, s10
	s_fmac_f32 s7, s6, s8
	s_delay_alu instid0(SALU_CYCLE_3) | instskip(NEXT) | instid1(SALU_CYCLE_3)
	s_add_f32 s8, s9, s7
	s_fmaak_f32 s11, s8, s11, 0x3e91f4c4
	s_sub_f32 s9, s8, s9
	s_delay_alu instid0(SALU_CYCLE_2) | instskip(NEXT) | instid1(SALU_CYCLE_2)
	s_fmaak_f32 s11, s8, s11, 0x3ecccdef
	s_sub_f32 s14, s7, s9
	s_delay_alu instid0(SALU_CYCLE_2) | instskip(NEXT) | instid1(SALU_CYCLE_3)
	s_mul_f32 s12, s8, s11
	s_xor_b32 s13, s12, 0x80000000
	s_delay_alu instid0(SALU_CYCLE_1) | instskip(NEXT) | instid1(SALU_CYCLE_3)
	s_fmac_f32 s13, s8, s11
	s_fmac_f32 s13, s14, s11
	s_delay_alu instid0(SALU_CYCLE_3) | instskip(NEXT) | instid1(SALU_CYCLE_3)
	s_add_f32 s9, s12, s13
	s_sub_f32 s7, s9, s12
	s_add_f32 s11, s9, 0x3f2aaaaa
	s_delay_alu instid0(SALU_CYCLE_2) | instskip(NEXT) | instid1(SALU_CYCLE_2)
	s_sub_f32 s7, s13, s7
	s_add_f32 s12, s11, 0xbf2aaaaa
	s_delay_alu instid0(SALU_CYCLE_2) | instskip(NEXT) | instid1(SALU_CYCLE_2)
	s_add_f32 s7, s7, 0x31739010
	s_sub_f32 s9, s9, s12
	s_delay_alu instid0(SALU_CYCLE_2) | instskip(NEXT) | instid1(SALU_CYCLE_2)
	v_mov_b64_e32 v[2:3], s[6:7]
	v_mov_b64_e32 v[4:5], s[8:9]
	s_delay_alu instid0(VALU_DEP_1) | instskip(SKIP_2) | instid1(VALU_DEP_3)
	v_pk_mul_f32 v[6:7], v[2:3], v[4:5]
	v_pk_add_f32 v[2:3], v[2:3], v[4:5]
	v_mov_b32_e32 v9, s11
	v_xor_b32_e32 v8, 0x80000000, v6
	s_delay_alu instid0(VALU_DEP_3) | instskip(NEXT) | instid1(VALU_DEP_2)
	v_mov_b32_e32 v7, v3
	v_fmac_f32_e64 v8, s8, s6
	s_delay_alu instid0(VALU_DEP_1) | instskip(NEXT) | instid1(VALU_DEP_1)
	v_fmac_f32_e64 v8, s8, s10
	v_fmac_f32_e64 v8, s14, s6
	s_delay_alu instid0(VALU_DEP_1) | instskip(NEXT) | instid1(VALU_DEP_1)
	v_pk_add_f32 v[4:5], v[6:7], v[8:9]
	v_dual_mov_b32 v2, v5 :: v_dual_sub_f32 v7, s11, v5
	v_mul_f32_e32 v12, 0x3f317218, v1
	s_delay_alu instid0(VALU_DEP_2) | instskip(NEXT) | instid1(VALU_DEP_3)
	v_pk_mul_f32 v[10:11], v[4:5], v[2:3]
	v_add_f32_e32 v3, v3, v7
	s_delay_alu instid0(VALU_DEP_3) | instskip(NEXT) | instid1(VALU_DEP_3)
	v_xor_b32_e32 v7, 0x80000000, v12
	v_xor_b32_e32 v2, 0x80000000, v10
	s_delay_alu instid0(VALU_DEP_2) | instskip(NEXT) | instid1(VALU_DEP_2)
	v_dual_sub_f32 v6, v4, v6 :: v_dual_fmac_f32 v7, 0x3f317218, v1
	v_fmac_f32_e32 v2, v4, v5
	s_delay_alu instid0(VALU_DEP_2) | instskip(NEXT) | instid1(VALU_DEP_2)
	v_sub_f32_e32 v6, v8, v6
	v_fmac_f32_e32 v2, v4, v3
	s_delay_alu instid0(VALU_DEP_1) | instskip(SKIP_3) | instid1(VALU_DEP_2)
	v_fmac_f32_e32 v2, v6, v5
	v_fmamk_f32 v4, v1, 0xb102e308, v7
	v_ldexp_f32 v5, s6, 1
	v_ldexp_f32 v1, s10, 1
	v_dual_add_f32 v13, v10, v2 :: v_dual_mov_b32 v11, v5
	s_delay_alu instid0(VALU_DEP_1) | instskip(SKIP_1) | instid1(VALU_DEP_2)
	v_pk_add_f32 v[6:7], v[12:13], v[4:5]
	v_dual_mov_b32 v8, v13 :: v_dual_mov_b32 v3, v13
	v_dual_mov_b32 v9, v7 :: v_dual_mov_b32 v5, v6
	v_mov_b32_e32 v14, v7
	s_delay_alu instid0(VALU_DEP_2) | instskip(NEXT) | instid1(VALU_DEP_1)
	v_pk_add_f32 v[8:9], v[8:9], v[10:11] neg_lo:[0,1] neg_hi:[0,1]
	v_pk_add_f32 v[2:3], v[2:3], v[8:9] neg_lo:[0,1] neg_hi:[0,1]
	s_delay_alu instid0(VALU_DEP_1) | instskip(NEXT) | instid1(VALU_DEP_1)
	v_add_f32_e32 v1, v1, v2
	v_add_f32_e32 v13, v1, v3
	s_delay_alu instid0(VALU_DEP_1) | instskip(SKIP_1) | instid1(VALU_DEP_2)
	v_pk_add_f32 v[2:3], v[6:7], v[12:13]
	v_pk_add_f32 v[8:9], v[6:7], v[12:13] neg_lo:[0,1] neg_hi:[0,1]
	v_mov_b32_e32 v9, v3
	s_delay_alu instid0(VALU_DEP_1) | instskip(SKIP_2) | instid1(VALU_DEP_3)
	v_pk_add_f32 v[10:11], v[4:5], v[8:9]
	v_pk_add_f32 v[4:5], v[4:5], v[8:9] neg_lo:[0,1] neg_hi:[0,1]
	v_dual_mov_b32 v16, v3 :: v_dual_mov_b32 v5, v6
	v_dual_mov_b32 v12, v11 :: v_dual_mov_b32 v17, v11
	s_delay_alu instid0(VALU_DEP_3) | instskip(NEXT) | instid1(VALU_DEP_2)
	v_readfirstlane_b32 s6, v4
	v_pk_add_f32 v[8:9], v[12:13], v[6:7] neg_lo:[0,1] neg_hi:[0,1]
	s_delay_alu instid0(VALU_DEP_2) | instskip(NEXT) | instid1(VALU_DEP_2)
	v_dual_mov_b32 v4, v13 :: v_dual_mov_b32 v10, s6
	v_dual_mov_b32 v15, v8 :: v_dual_mov_b32 v1, v8
	s_delay_alu instid0(VALU_DEP_1) | instskip(NEXT) | instid1(VALU_DEP_2)
	v_pk_add_f32 v[6:7], v[16:17], v[14:15] neg_lo:[0,1] neg_hi:[0,1]
	v_pk_add_f32 v[2:3], v[2:3], v[0:1] neg_lo:[0,1] neg_hi:[0,1]
	v_mov_b32_e32 v2, s6
	s_delay_alu instid0(VALU_DEP_3) | instskip(NEXT) | instid1(VALU_DEP_1)
	v_pk_add_f32 v[4:5], v[4:5], v[6:7] neg_lo:[0,1] neg_hi:[0,1]
	v_pk_add_f32 v[2:3], v[2:3], v[4:5]
	s_delay_alu instid0(VALU_DEP_1) | instskip(NEXT) | instid1(VALU_DEP_2)
	v_readfirstlane_b32 s7, v2
	v_mov_b32_e32 v6, v3
	s_delay_alu instid0(VALU_DEP_1) | instskip(NEXT) | instid1(VALU_DEP_3)
	v_pk_add_f32 v[6:7], v[2:3], v[6:7]
	v_mov_b32_e32 v2, s7
	s_delay_alu instid0(VALU_DEP_2) | instskip(SKIP_1) | instid1(VALU_DEP_2)
	v_pk_add_f32 v[8:9], v[12:13], v[6:7]
	v_mov_b32_e32 v5, v6
	v_readfirstlane_b32 s8, v8
	s_delay_alu instid0(VALU_DEP_1) | instskip(NEXT) | instid1(VALU_DEP_1)
	v_mov_b32_e32 v3, s8
	v_pk_add_f32 v[2:3], v[2:3], v[10:11] neg_lo:[0,1] neg_hi:[0,1]
	s_delay_alu instid0(VALU_DEP_1) | instskip(NEXT) | instid1(VALU_DEP_2)
	v_readfirstlane_b32 s9, v2
	v_pk_add_f32 v[2:3], v[4:5], v[2:3] neg_lo:[0,1] neg_hi:[0,1]
	s_sub_f32 s7, s7, s9
	s_delay_alu instid0(VALU_DEP_1) | instskip(NEXT) | instid1(SALU_CYCLE_2)
	v_readfirstlane_b32 s9, v2
	s_sub_f32 s6, s6, s7
	v_readfirstlane_b32 s7, v3
	s_delay_alu instid0(SALU_CYCLE_2) | instskip(NEXT) | instid1(SALU_CYCLE_3)
	s_add_f32 s6, s9, s6
	s_add_f32 s6, s6, s7
	s_delay_alu instid0(SALU_CYCLE_3) | instskip(NEXT) | instid1(SALU_CYCLE_3)
	s_add_f32 s7, s8, s6
	s_mul_f32 s9, s5, s7
	s_sub_f32 s8, s7, s8
	s_delay_alu instid0(SALU_CYCLE_2) | instskip(NEXT) | instid1(SALU_CYCLE_2)
	s_xor_b32 s10, s9, 0x80000000
	s_sub_f32 s6, s6, s8
	s_fmac_f32 s10, s5, s7
	s_delay_alu instid0(SALU_CYCLE_3) | instskip(SKIP_1) | instid1(SALU_CYCLE_2)
	s_fmac_f32 s10, s5, s6
	v_cmp_class_f32_e64 s6, s9, 0x204
	s_add_f32 s7, s9, s10
	s_and_b32 s6, s6, exec_lo
	s_delay_alu instid0(SALU_CYCLE_2) | instskip(SKIP_1) | instid1(SALU_CYCLE_1)
	s_sub_f32 s6, s7, s9
	s_cselect_b32 s7, s9, s7
	s_and_b32 s8, s7, 0x7fffffff
	s_delay_alu instid0(SALU_CYCLE_1) | instskip(SKIP_1) | instid1(SALU_CYCLE_2)
	s_sub_f32 s6, s10, s6
	s_cmp_neq_f32 s8, 0x7f800000
	s_cselect_b32 s6, s6, 0
	s_cmp_eq_f32 s7, 0x42b17218
	s_cselect_b32 s8, 0x37000000, 0
	s_delay_alu instid0(SALU_CYCLE_1) | instskip(SKIP_1) | instid1(SALU_CYCLE_2)
	s_sub_f32 s7, s7, s8
	s_add_f32 s6, s8, s6
	s_mul_f32 s9, s7, 0x3fb8aa3b
	s_delay_alu instid0(SALU_CYCLE_3) | instskip(SKIP_3) | instid1(SALU_CYCLE_1)
	s_xor_b32 s10, s9, 0x80000000
	s_rndne_f32 s11, s9
	s_fmamk_f32 s10, s7, 0x3fb8aa3b, s10
	s_cmp_nlt_f32 s7, 0xc2ce8ed0
	s_sub_f32 s9, s9, s11
	s_delay_alu instid0(SALU_CYCLE_1)
	s_fmamk_f32 s10, s7, 0x32a5705f, s10
	s_cselect_b32 vcc_lo, -1, 0
	s_cmp_ngt_f32 s7, 0x42b17218
	s_trunc_f32 s7, s5
	s_add_f32 s9, s9, s10
	s_cvt_i32_f32 s10, s11
	s_delay_alu instid0(SALU_CYCLE_2)
	v_s_exp_f32 s9, s9
	v_nop
	s_delay_alu instid0(TRANS32_DEP_1) | instid1(SALU_CYCLE_1)
	v_ldexp_f32 v1, s9, s10
	s_mul_f32 s9, s5, 0.5
	s_delay_alu instid0(VALU_DEP_1) | instskip(SKIP_3) | instid1(VALU_DEP_1)
	v_cndmask_b32_e32 v1, 0, v1, vcc_lo
	s_cselect_b32 vcc_lo, -1, 0
	s_cmp_eq_f32 s7, s5
	s_trunc_f32 s10, s9
	v_cndmask_b32_e32 v1, 0x7f800000, v1, vcc_lo
	s_cselect_b32 s11, -1, 0
	s_delay_alu instid0(SALU_CYCLE_1) | instskip(NEXT) | instid1(VALU_DEP_1)
	s_cmp_neq_f32 s10, s9
	v_fma_f32 v2, s6, v1, v1
	v_cmp_class_f32_e64 vcc_lo, v1, 0x204
	s_cselect_b32 s8, -1, 0
	s_delay_alu instid0(SALU_CYCLE_1)
	s_and_b32 s6, s11, s8
	v_cndmask_b32_e32 v1, v2, v1, vcc_lo
	s_and_b32 s8, s6, exec_lo
	s_cselect_b32 s8, s4, 1.0
	s_cmp_eq_f32 s7, s5
	v_cmp_class_f32_e64 s7, s4, 0x204
	v_bfi_b32 v1, 0x7fffffff, v1, s8
	s_cselect_b32 vcc_lo, -1, 0
	s_cmp_lt_f32 s4, 0
	s_delay_alu instid0(VALU_DEP_1) | instskip(SKIP_2) | instid1(VALU_DEP_1)
	v_cndmask_b32_e32 v2, 0x7fc00000, v1, vcc_lo
	s_cselect_b32 vcc_lo, -1, 0
	s_cmp_eq_f32 s4, 0
	v_cndmask_b32_e32 v1, v1, v2, vcc_lo
	s_cselect_b32 s8, -1, 0
	s_delay_alu instid0(SALU_CYCLE_1) | instskip(SKIP_2) | instid1(SALU_CYCLE_1)
	s_or_b32 vcc_lo, s8, s7
	s_cmp_lt_f32 s5, 0
	s_cselect_b32 s5, -1, 0
	s_xor_b32 s5, s5, s8
	s_delay_alu instid0(SALU_CYCLE_1)
	s_and_b32 s5, s5, exec_lo
	s_cselect_b32 s5, 0, 0x7f800000
	s_and_b32 s6, s6, exec_lo
	s_cselect_b32 s6, s4, 0
	s_cmp_o_f32 s4, s4
	v_mov_b32_e32 v2, s6
	s_delay_alu instid0(VALU_DEP_1) | instskip(NEXT) | instid1(VALU_DEP_1)
	v_bfi_b32 v2, 0x7fffffff, s5, v2
	v_cndmask_b32_e32 v1, v1, v2, vcc_lo
	s_cselect_b32 vcc_lo, -1, 0
	s_delay_alu instid0(VALU_DEP_1)
	v_cndmask_b32_e32 v46, 0x7fc00000, v1, vcc_lo
.LBB14_2:
	s_load_b96 s[40:42], s[0:1], 0x70
	s_wait_kmcnt 0x0
	s_load_b512 s[4:19], s[0:1], 0x0
	s_bfe_u32 s22, ttmp6, 0x4000c
	v_and_b32_e32 v43, 0x3ff, v0
	s_add_co_i32 s22, s22, 1
	s_and_b32 s23, ttmp6, 15
	s_mul_i32 s22, ttmp9, s22
	s_delay_alu instid0(VALU_DEP_1) | instskip(SKIP_3) | instid1(VALU_DEP_1)
	v_dual_mov_b32 v47, 0 :: v_dual_lshlrev_b32 v41, 2, v43
	s_add_co_i32 s23, s23, s22
	s_cmp_eq_u32 s27, 0
	s_cselect_b32 s33, ttmp9, s23
	v_and_b32_e32 v42, 28, v41
	s_delay_alu instid0(VALU_DEP_1) | instskip(SKIP_4) | instid1(SALU_CYCLE_1)
	v_lshlrev_b32_e32 v1, 3, v42
	s_mul_i32 s22, s26, s42
	s_mul_i32 s23, s40, s33
	;; [unrolled: 1-line block ×3, first 2 shown]
	s_add_co_i32 s22, s22, s23
	s_add_co_i32 s22, s22, s34
	s_delay_alu instid0(SALU_CYCLE_1)
	s_ashr_i32 s23, s22, 31
	s_wait_kmcnt 0x0
	s_cmp_eq_u64 s[14:15], 0
	s_add_nc_u64 s[4:5], s[4:5], s[22:23]
	s_clause 0x3
	global_load_b128 v[6:9], v1, s[4:5] offset:16
	global_load_b128 v[14:17], v1, s[4:5]
	global_load_b128 v[2:5], v1, s[4:5] offset:272
	global_load_b128 v[10:13], v1, s[4:5] offset:256
	s_cbranch_scc1 .LBB14_4
; %bb.3:
	s_wait_xcnt 0x0
	s_load_b32 s4, s[0:1], 0xd0
	s_wait_kmcnt 0x0
	s_mul_i32 s4, s4, s26
	s_delay_alu instid0(SALU_CYCLE_1)
	s_add_co_i32 s4, s4, s33
	s_load_b32 s28, s[14:15], s4 offset:0x0 scale_offset
.LBB14_4:
	v_bfe_u32 v44, v0, 10, 10
	s_wait_xcnt 0x0
	s_bfe_u32 s5, ttmp6, 0x40010
	s_and_b32 s4, ttmp7, 0xffff
	s_add_co_i32 s5, s5, 1
	s_bfe_u32 s14, ttmp6, 0x40004
	v_lshlrev_b32_e32 v18, 5, v44
	s_mul_i32 s5, s4, s5
	v_mbcnt_lo_u32_b32 v45, -1, 0
	s_add_co_i32 s14, s14, s5
	s_cmp_eq_u32 s27, 0
	v_add_nc_u32_e32 v1, v18, v43
	s_cselect_b32 s40, s4, s14
	s_mov_b32 s15, 0
	s_lshl_b32 s41, s40, 7
	s_wait_kmcnt 0x0
	s_cmp_ge_i32 s41, s28
	v_lshlrev_b32_e32 v40, 1, v1
	s_cbranch_scc1 .LBB14_24
; %bb.5:
	s_mul_f32 s4, s31, 0x4f7ffffe
	s_mul_f32 s5, s21, 0x4f7ffffe
	s_sub_co_i32 s14, 0, s36
	s_sub_co_i32 s21, 0, s2
	s_cvt_u32_f32 s22, s4
	s_cvt_u32_f32 s5, s5
	s_cvt_f16_f32 s20, s20
	s_abs_i32 s34, s29
	s_mul_i32 s14, s14, s22
	s_mul_i32 s21, s21, s5
	s_mul_hi_u32 s14, s22, s14
	s_mul_hi_u32 s21, s5, s21
	s_abs_i32 s4, s26
	s_add_co_i32 s22, s22, s14
	s_add_co_i32 s38, s5, s21
	s_mov_b32 s23, s35
	s_mov_b32 s5, s35
	;; [unrolled: 1-line block ×3, first 2 shown]
	s_and_b32 s20, 0xffff, s20
	s_ashr_i32 s37, s30, 31
	s_mul_u64 s[42:43], s[34:35], s[22:23]
	s_mul_u64 s[38:39], s[4:5], s[38:39]
	s_mul_i32 s5, s20, 0x10001
	s_clause 0x1
	s_load_b64 s[30:31], s[0:1], 0x8c
	s_load_b128 s[20:23], s[0:1], 0x98
	s_wait_loadcnt 0x2
	v_cvt_pk_f16_f32 v0, v14, v15
	s_wait_loadcnt 0x1
	v_cvt_pk_f16_f32 v2, v2, v3
	s_mul_i32 s35, s43, s36
	s_ashr_i32 s14, s29, 31
	s_sub_co_i32 s34, s34, s35
	v_pk_mul_f16 v68, v0, s5
	v_and_b32_e32 v0, 0x78, v43
	s_ashr_i32 s27, s26, 31
	s_xor_b32 s14, s14, s37
	s_add_co_i32 s35, s43, 1
	s_sub_co_i32 s37, s34, s36
	v_add_nc_u32_e32 v0, v18, v0
	s_cmp_ge_u32 s34, s36
	v_pk_mul_f16 v74, v2, s5
	s_cselect_b32 s35, s35, s43
	s_cselect_b32 s34, s37, s34
	s_add_co_i32 s37, s35, 1
	s_cmp_ge_u32 s34, s36
	s_wait_kmcnt 0x0
	v_mul_lo_u32 v2, v0, s30
	s_cselect_b32 s34, s37, s35
	v_cvt_pk_f16_f32 v6, v6, v7
	s_xor_b32 s34, s34, s14
	v_cvt_pk_f16_f32 v3, v4, v5
	s_sub_co_i32 s14, s34, s14
	s_clause 0x1
	s_load_b64 s[36:37], s[0:1], 0xa8
	s_load_b64 s[42:43], s[0:1], 0xc8
	s_mul_i32 s34, s14, s31
	s_mul_i32 s31, s39, s2
	;; [unrolled: 1-line block ×3, first 2 shown]
	s_sub_co_i32 s4, s4, s31
	v_add_nc_u32_e32 v4, s30, v2
	v_cvt_pk_f16_f32 v7, v8, v9
	s_wait_loadcnt 0x0
	v_cvt_pk_f16_f32 v8, v10, v11
	v_pk_mul_f16 v70, v6, s5
	s_ashr_i32 s35, s34, 31
	v_add_nc_u32_e32 v6, s30, v4
	s_ashr_i32 s39, s38, 31
	s_sub_co_i32 s14, s4, s2
	s_cmp_ge_u32 s4, s2
	v_pk_mul_f16 v72, v8, s5
	s_cselect_b32 s4, s14, s4
	v_pk_mul_f16 v75, v3, s5
	v_dual_lshlrev_b32 v3, 3, v43 :: v_dual_add_nc_u32 v8, s30, v6
	s_sub_co_i32 s14, s4, s2
	s_cmp_ge_u32 s4, s2
	v_cvt_pk_f16_f32 v14, v16, v17
	v_cvt_pk_f16_f32 v9, v12, v13
	s_cselect_b32 s2, s14, s4
	v_dual_ashrrev_i32 v3, 31, v2 :: v_dual_bitop2_b32 v12, 56, v3 bitop3:0x40
	v_add_nc_u32_e32 v10, s30, v8
	s_xor_b32 s2, s2, s27
	v_pk_mul_f16 v69, v14, s5
	v_pk_mul_f16 v71, v7, s5
	;; [unrolled: 1-line block ×3, first 2 shown]
	s_mul_u64 s[4:5], s[20:21], s[26:27]
	s_sub_co_i32 s20, s2, s27
	v_dual_lshrrev_b32 v20, 3, v43 :: v_dual_bitop2_b32 v19, 7, v43 bitop3:0x40
	s_ashr_i32 s21, s20, 31
	v_dual_add_nc_u32 v14, s30, v10 :: v_dual_ashrrev_i32 v11, 31, v10
	s_wait_kmcnt 0x0
	s_mul_u64 s[20:21], s[42:43], s[20:21]
	s_mul_i32 s2, s3, s33
	s_add_nc_u64 s[4:5], s[6:7], s[4:5]
	s_mul_u64 s[6:7], s[36:37], s[26:27]
	s_add_nc_u64 s[20:21], s[10:11], s[20:21]
	s_ashr_i32 s3, s2, 31
	v_dual_add_nc_u32 v16, s30, v14 :: v_dual_add_nc_u32 v23, v18, v20
	v_or_b32_e32 v21, v18, v20
	s_add_nc_u64 s[6:7], s[8:9], s[6:7]
	s_add_nc_u64 s[2:3], s[20:21], s[2:3]
	s_lshl_b32 s14, s41, 1
	s_add_nc_u64 s[6:7], s[6:7], s[38:39]
	s_add_nc_u64 s[20:21], s[2:3], s[14:15]
	s_mul_i32 s14, s22, s41
	s_add_nc_u64 s[36:37], s[4:5], s[34:35]
	s_add_nc_u64 s[34:35], s[6:7], s[14:15]
	v_cmp_eq_u32_e64 s2, 7, v19
	v_cmp_eq_u32_e64 s3, 0, v19
	;; [unrolled: 1-line block ×7, first 2 shown]
	v_dual_add_nc_u32 v22, 4, v23 :: v_dual_add_nc_u32 v24, 8, v23
	v_add_nc_u32_e32 v18, s30, v16
	v_cmp_eq_u32_e64 s9, 6, v19
	v_dual_add_nc_u32 v19, 12, v23 :: v_dual_bitop2_b32 v25, 16, v21 bitop3:0x54
	v_dual_add_nc_u32 v27, 20, v23 :: v_dual_add_nc_u32 v29, 24, v23
	v_add_nc_u32_e32 v31, 28, v23
	v_mul_lo_u32 v20, v21, s22
	v_mul_lo_u32 v22, v22, s22
	;; [unrolled: 1-line block ×7, first 2 shown]
	v_ashrrev_i32_e32 v19, 31, v18
	v_mul_lo_u32 v34, v31, s22
	v_dual_mov_b32 v13, 0 :: v_dual_ashrrev_i32 v5, 31, v4
	v_dual_ashrrev_i32 v7, 31, v6 :: v_dual_ashrrev_i32 v9, 31, v8
	v_dual_ashrrev_i32 v15, 31, v14 :: v_dual_ashrrev_i32 v17, 31, v16
	v_dual_lshlrev_b32 v56, 1, v21 :: v_dual_ashrrev_i32 v21, 31, v20
	v_dual_lshlrev_b32 v57, 1, v23 :: v_dual_ashrrev_i32 v23, 31, v22
	v_dual_ashrrev_i32 v25, 31, v24 :: v_dual_ashrrev_i32 v27, 31, v26
	v_dual_ashrrev_i32 v29, 31, v28 :: v_dual_ashrrev_i32 v31, 31, v30
	;; [unrolled: 1-line block ×3, first 2 shown]
	v_dual_mov_b32 v59, 0xfeffffff :: v_dual_lshlrev_b32 v36, 1, v12
	v_dual_mov_b32 v51, 0 :: v_dual_mov_b32 v48, 0
	v_dual_mov_b32 v50, 0 :: v_dual_mov_b32 v49, 0
	;; [unrolled: 1-line block ×4, first 2 shown]
	v_mov_b32_e32 v47, 0
	s_mul_i32 s14, s30, s41
	s_cmp_lg_u64 s[10:11], 0
	s_add_nc_u64 s[10:11], s[36:37], s[14:15]
	s_cselect_b32 s23, -1, 0
	s_add_nc_u64 s[36:37], s[0:1], 0xd0
                                        ; implicit-def: $vgpr58
.LBB14_6:                               ; =>This Inner Loop Header: Depth=1
	v_dual_mov_b32 v67, v13 :: v_dual_lshlrev_b32 v12, 2, v42
	s_delay_alu instid0(VALU_DEP_1) | instskip(NEXT) | instid1(VALU_DEP_1)
	v_add_nc_u64_e32 v[38:39], s[10:11], v[12:13]
	v_add_nc_u64_e32 v[64:65], v[38:39], v[2:3]
	global_load_b128 v[60:63], v[64:65], off
	s_wait_loadcnt 0x0
	;;#ASMSTART
	v_dot2_f32_f16 v67, v60, v68, v67
	;;#ASMEND
	;;#ASMSTART
	v_dot2_f32_f16 v67, v61, v69, v67
	;;#ASMEND
	;; [unrolled: 3-line block ×4, first 2 shown]
	global_load_b128 v[60:63], v[64:65], off offset:128
	s_wait_loadcnt 0x0
	;;#ASMSTART
	v_dot2_f32_f16 v67, v60, v72, v67
	;;#ASMEND
	;;#ASMSTART
	v_dot2_f32_f16 v67, v61, v73, v67
	;;#ASMEND
	;; [unrolled: 3-line block ×4, first 2 shown]
	v_and_b32_e32 v12, 24, v45
	v_xor_b32_e32 v37, 4, v45
	v_xor_b32_e32 v61, 2, v45
	s_delay_alu instid0(VALU_DEP_3) | instskip(NEXT) | instid1(VALU_DEP_1)
	v_dual_add_nc_u32 v12, 8, v12 :: v_dual_bitop2_b32 v62, 1, v45 bitop3:0x14
	v_cmp_lt_i32_e32 vcc_lo, v37, v12
	v_cndmask_b32_e32 v37, v45, v37, vcc_lo
	s_delay_alu instid0(VALU_DEP_4) | instskip(SKIP_2) | instid1(VALU_DEP_4)
	v_cmp_lt_i32_e32 vcc_lo, v61, v12
	v_cndmask_b32_e32 v61, v45, v61, vcc_lo
	v_cmp_lt_i32_e32 vcc_lo, v62, v12
	v_dual_cndmask_b32 v12, v45, v62 :: v_dual_lshlrev_b32 v37, 2, v37
	s_and_b32 vcc_lo, exec_lo, s23
	ds_bpermute_b32 v60, v37, v67
	s_wait_dscnt 0x0
	v_dual_add_f32 v60, v67, v60 :: v_dual_lshlrev_b32 v66, 2, v61
	v_lshlrev_b32_e32 v67, 2, v12
	ds_bpermute_b32 v61, v66, v60
	s_wait_dscnt 0x0
	v_add_f32_e32 v12, v60, v61
	ds_bpermute_b32 v60, v67, v12
	s_wait_dscnt 0x0
	v_add_f32_e32 v12, v12, v60
	s_cbranch_vccz .LBB14_8
; %bb.7:                                ;   in Loop: Header=BB14_6 Depth=1
	global_load_u16 v60, v0, s[20:21] scale_offset
	s_wait_loadcnt 0x0
	v_fma_mix_f32 v12, v46, v60, v12 op_sel_hi:[0,1,0]
.LBB14_8:                               ;   in Loop: Header=BB14_6 Depth=1
	v_add_nc_u64_e32 v[64:65], v[38:39], v[4:5]
	v_mov_b32_e32 v76, v13
	s_and_not1_b32 vcc_lo, exec_lo, s23
	global_load_b128 v[60:63], v[64:65], off
	s_wait_loadcnt 0x0
	;;#ASMSTART
	v_dot2_f32_f16 v76, v60, v68, v76
	;;#ASMEND
	;;#ASMSTART
	v_dot2_f32_f16 v76, v61, v69, v76
	;;#ASMEND
	;; [unrolled: 3-line block ×4, first 2 shown]
	global_load_b128 v[60:63], v[64:65], off offset:128
	s_wait_loadcnt 0x0
	;;#ASMSTART
	v_dot2_f32_f16 v76, v60, v72, v76
	;;#ASMEND
	;;#ASMSTART
	v_dot2_f32_f16 v76, v61, v73, v76
	;;#ASMEND
	;; [unrolled: 3-line block ×4, first 2 shown]
	ds_bpermute_b32 v60, v37, v76
	s_wait_dscnt 0x0
	v_add_f32_e32 v60, v76, v60
	ds_bpermute_b32 v61, v66, v60
	s_wait_dscnt 0x0
	v_add_f32_e32 v60, v60, v61
	;; [unrolled: 3-line block ×3, first 2 shown]
	s_cbranch_vccnz .LBB14_10
; %bb.9:                                ;   in Loop: Header=BB14_6 Depth=1
	global_load_u16 v61, v0, s[20:21] offset:2 scale_offset
	s_wait_loadcnt 0x0
	v_fma_mix_f32 v60, v46, v61, v60 op_sel_hi:[0,1,0]
.LBB14_10:                              ;   in Loop: Header=BB14_6 Depth=1
	v_add_nc_u64_e32 v[76:77], v[38:39], v[6:7]
	v_mov_b32_e32 v78, v13
	s_and_not1_b32 vcc_lo, exec_lo, s23
	global_load_b128 v[62:65], v[76:77], off
	s_wait_loadcnt 0x0
	;;#ASMSTART
	v_dot2_f32_f16 v78, v62, v68, v78
	;;#ASMEND
	;;#ASMSTART
	v_dot2_f32_f16 v78, v63, v69, v78
	;;#ASMEND
	;;#ASMSTART
	v_dot2_f32_f16 v78, v64, v70, v78
	;;#ASMEND
	;;#ASMSTART
	v_dot2_f32_f16 v78, v65, v71, v78
	;;#ASMEND
	global_load_b128 v[62:65], v[76:77], off offset:128
	s_wait_loadcnt 0x0
	;;#ASMSTART
	v_dot2_f32_f16 v78, v62, v72, v78
	;;#ASMEND
	;;#ASMSTART
	v_dot2_f32_f16 v78, v63, v73, v78
	;;#ASMEND
	;;#ASMSTART
	v_dot2_f32_f16 v78, v64, v74, v78
	;;#ASMEND
	;;#ASMSTART
	v_dot2_f32_f16 v78, v65, v75, v78
	;;#ASMEND
	ds_bpermute_b32 v61, v37, v78
	s_wait_dscnt 0x0
	v_add_f32_e32 v61, v78, v61
	ds_bpermute_b32 v62, v66, v61
	s_wait_dscnt 0x0
	v_add_f32_e32 v61, v61, v62
	ds_bpermute_b32 v62, v67, v61
	s_wait_dscnt 0x0
	v_add_f32_e32 v61, v61, v62
	s_cbranch_vccnz .LBB14_12
; %bb.11:                               ;   in Loop: Header=BB14_6 Depth=1
	global_load_u16 v62, v0, s[20:21] offset:4 scale_offset
	s_wait_loadcnt 0x0
	v_fma_mix_f32 v61, v46, v62, v61 op_sel_hi:[0,1,0]
.LBB14_12:                              ;   in Loop: Header=BB14_6 Depth=1
	v_add_nc_u64_e32 v[76:77], v[38:39], v[8:9]
	v_mov_b32_e32 v78, v13
	s_and_not1_b32 vcc_lo, exec_lo, s23
	global_load_b128 v[62:65], v[76:77], off
	s_wait_loadcnt 0x0
	;;#ASMSTART
	v_dot2_f32_f16 v78, v62, v68, v78
	;;#ASMEND
	;;#ASMSTART
	v_dot2_f32_f16 v78, v63, v69, v78
	;;#ASMEND
	;;#ASMSTART
	v_dot2_f32_f16 v78, v64, v70, v78
	;;#ASMEND
	;;#ASMSTART
	v_dot2_f32_f16 v78, v65, v71, v78
	;;#ASMEND
	global_load_b128 v[62:65], v[76:77], off offset:128
	s_wait_loadcnt 0x0
	;;#ASMSTART
	v_dot2_f32_f16 v78, v62, v72, v78
	;;#ASMEND
	;;#ASMSTART
	v_dot2_f32_f16 v78, v63, v73, v78
	;;#ASMEND
	;;#ASMSTART
	v_dot2_f32_f16 v78, v64, v74, v78
	;;#ASMEND
	;;#ASMSTART
	v_dot2_f32_f16 v78, v65, v75, v78
	;;#ASMEND
	ds_bpermute_b32 v62, v37, v78
	s_wait_dscnt 0x0
	v_add_f32_e32 v62, v78, v62
	ds_bpermute_b32 v63, v66, v62
	s_wait_dscnt 0x0
	v_add_f32_e32 v62, v62, v63
	ds_bpermute_b32 v63, v67, v62
	s_wait_dscnt 0x0
	v_add_f32_e32 v62, v62, v63
	s_cbranch_vccnz .LBB14_14
; %bb.13:                               ;   in Loop: Header=BB14_6 Depth=1
	global_load_u16 v63, v0, s[20:21] offset:6 scale_offset
	s_wait_loadcnt 0x0
	v_fma_mix_f32 v62, v46, v63, v62 op_sel_hi:[0,1,0]
.LBB14_14:                              ;   in Loop: Header=BB14_6 Depth=1
	;; [unrolled: 46-line block ×6, first 2 shown]
	v_add_nc_u64_e32 v[66:67], s[34:35], v[20:21]
	v_add_nc_u64_e32 v[80:81], s[34:35], v[22:23]
	v_mov_b32_e32 v37, v13
	v_add_nc_u64_e32 v[88:89], s[34:35], v[24:25]
	v_add_nc_u64_e32 v[98:99], s[34:35], v[26:27]
	;; [unrolled: 1-line block ×9, first 2 shown]
	v_add_f32_e32 v39, 0x40051340, v60
	v_add_nc_u64_e32 v[128:129], v[114:115], v[36:37]
	s_clause 0x2
	global_load_b128 v[76:79], v[66:67], off
	global_load_b128 v[80:83], v[66:67], off offset:128
	global_load_b128 v[84:87], v[96:97], off
	s_wait_xcnt 0x1
	v_add_nc_u64_e32 v[66:67], v[88:89], v[36:37]
	v_add_nc_u64_e32 v[140:141], v[130:131], v[36:37]
	s_mov_b32 s39, s15
	s_clause 0x3
	global_load_b128 v[88:91], v[96:97], off offset:128
	global_load_b128 v[92:95], v[66:67], off
	global_load_b128 v[96:99], v[66:67], off offset:128
	global_load_b128 v[100:103], v[112:113], off
	s_wait_xcnt 0x1
	v_add_nc_u64_e32 v[66:67], v[104:105], v[36:37]
	s_clause 0x3
	global_load_b128 v[104:107], v[112:113], off offset:128
	global_load_b128 v[108:111], v[66:67], off
	global_load_b128 v[112:115], v[66:67], off offset:128
	global_load_b128 v[116:119], v[128:129], off
	s_wait_xcnt 0x1
	v_add_nc_u64_e32 v[66:67], v[120:121], v[36:37]
	v_add_f32_e32 v37, 0x40051340, v12
	s_clause 0x4
	global_load_b128 v[120:123], v[128:129], off offset:128
	global_load_b128 v[124:127], v[66:67], off
	global_load_b128 v[128:131], v[66:67], off offset:128
	global_load_b128 v[132:135], v[140:141], off
	global_load_b128 v[136:139], v[140:141], off offset:128
	s_wait_xcnt 0x2
	v_dual_add_f32 v66, 0x40051340, v61 :: v_dual_add_f32 v67, 0x40051340, v62
	s_wait_xcnt 0x0
	v_add_f32_e32 v140, 0x40051340, v63
	v_max3_num_f32 v37, v59, v37, v39
	v_dual_cndmask_b32 v12, v58, v12, s3 :: v_dual_bitop2_b32 v39, 8, v45 bitop3:0x14
	v_add_f32_e32 v141, 0x40051340, v64
	s_load_b32 s14, s[36:37], 0x4
	s_delay_alu instid0(VALU_DEP_3) | instskip(NEXT) | instid1(VALU_DEP_3)
	v_max3_num_f32 v37, v37, v66, v67
	v_cmp_gt_i32_e32 vcc_lo, 32, v39
	v_dual_add_f32 v66, 0x40051340, v65 :: v_dual_add_f32 v67, 0x40051340, v38
	v_cndmask_b32_e64 v12, v12, v60, s4
	s_delay_alu instid0(VALU_DEP_4) | instskip(NEXT) | instid1(VALU_DEP_2)
	v_max3_num_f32 v37, v37, v140, v141
	v_dual_cndmask_b32 v39, v45, v39, vcc_lo :: v_dual_cndmask_b32 v12, v12, v61, s5
	s_delay_alu instid0(VALU_DEP_2) | instskip(NEXT) | instid1(VALU_DEP_2)
	v_max3_num_f32 v37, v37, v66, v67
	v_dual_lshlrev_b32 v39, 2, v39 :: v_dual_bitop2_b32 v66, 16, v45 bitop3:0x14
	s_delay_alu instid0(VALU_DEP_1)
	v_cmp_gt_i32_e32 vcc_lo, 32, v66
	ds_bpermute_b32 v39, v39, v37
	s_wait_kmcnt 0x0
	s_lshl_b32 s38, s14, 7
	v_cndmask_b32_e32 v58, v45, v66, vcc_lo
	s_mul_i32 s14, s38, s30
	s_add_co_i32 s41, s38, s41
	s_add_nc_u64 s[10:11], s[10:11], s[14:15]
	s_mul_i32 s14, s38, s22
	v_lshlrev_b32_e32 v58, 2, v58
	s_lshl_b64 s[38:39], s[38:39], 1
	s_add_nc_u64 s[34:35], s[34:35], s[14:15]
	s_cmp_ge_i32 s41, s28
	s_add_nc_u64 s[20:21], s[20:21], s[38:39]
	s_wait_dscnt 0x0
	v_max_num_f32_e32 v39, v39, v39
	s_delay_alu instid0(VALU_DEP_1) | instskip(SKIP_3) | instid1(VALU_DEP_1)
	v_max_num_f32_e32 v37, v37, v39
	ds_bpermute_b32 v39, v58, v37
	s_wait_dscnt 0x0
	v_dual_cndmask_b32 v12, v12, v62, s6 :: v_dual_max_num_f32 v39, v39, v39
	v_cndmask_b32_e64 v12, v12, v63, s7
	s_delay_alu instid0(VALU_DEP_1) | instskip(NEXT) | instid1(VALU_DEP_1)
	v_cndmask_b32_e64 v12, v12, v64, s8
	v_cndmask_b32_e64 v12, v12, v65, s9
	s_delay_alu instid0(VALU_DEP_1) | instskip(NEXT) | instid1(VALU_DEP_1)
	v_dual_cndmask_b32 v38, v12, v38, s2 :: v_dual_max_num_f32 v12, v37, v39
	v_dual_sub_f32 v37, v38, v12 :: v_dual_sub_f32 v38, v59, v12
	s_delay_alu instid0(VALU_DEP_1) | instskip(SKIP_1) | instid1(VALU_DEP_2)
	v_dual_mul_f32 v58, 0x3fb8aa3b, v38 :: v_dual_mul_f32 v39, 0x3fb8aa3b, v37
	v_cmp_ngt_f32_e32 vcc_lo, 0xc2ce8ed0, v37
	v_fma_f32 v61, 0x3fb8aa3b, v38, -v58
	s_delay_alu instid0(VALU_DEP_3) | instskip(SKIP_2) | instid1(VALU_DEP_4)
	v_fma_f32 v59, 0x3fb8aa3b, v37, -v39
	v_rndne_f32_e32 v60, v39
	v_rndne_f32_e32 v62, v58
	v_fmac_f32_e32 v61, 0x32a5705f, v38
	s_delay_alu instid0(VALU_DEP_4) | instskip(NEXT) | instid1(VALU_DEP_3)
	v_fmac_f32_e32 v59, 0x32a5705f, v37
	v_dual_sub_f32 v39, v39, v60 :: v_dual_sub_f32 v58, v58, v62
	s_delay_alu instid0(VALU_DEP_1) | instskip(SKIP_2) | instid1(VALU_DEP_3)
	v_dual_add_f32 v39, v39, v59 :: v_dual_add_f32 v58, v58, v61
	v_cvt_i32_f32_e32 v59, v60
	v_cvt_i32_f32_e32 v60, v62
	v_exp_f32_e32 v39, v39
	s_delay_alu instid0(VALU_DEP_3) | instskip(NEXT) | instid1(TRANS32_DEP_2)
	v_exp_f32_e32 v58, v58
	v_ldexp_f32 v39, v39, v59
	s_delay_alu instid0(TRANS32_DEP_1) | instskip(NEXT) | instid1(VALU_DEP_2)
	v_ldexp_f32 v58, v58, v60
	v_cndmask_b32_e32 v39, 0, v39, vcc_lo
	v_cmp_ngt_f32_e32 vcc_lo, 0xc2ce8ed0, v38
	s_delay_alu instid0(VALU_DEP_3) | instskip(SKIP_1) | instid1(VALU_DEP_4)
	v_cndmask_b32_e32 v59, 0, v58, vcc_lo
	v_cmp_nlt_f32_e32 vcc_lo, 0x42b17218, v37
	v_cndmask_b32_e32 v58, 0x7f800000, v39, vcc_lo
	v_cmp_nlt_f32_e32 vcc_lo, 0x42b17218, v38
	s_delay_alu instid0(VALU_DEP_2) | instskip(SKIP_4) | instid1(VALU_DEP_2)
	v_cvt_f16_f32_e32 v38, v58
	v_cndmask_b32_e32 v37, 0x7f800000, v59, vcc_lo
	ds_store_b16 v40, v38
	v_cvt_f16_f32_e32 v39, v37
	v_fma_f32 v47, v47, v37, v58
	v_and_b32_e32 v38, 0xffff, v39
	ds_load_u16 v39, v56
	ds_load_u16 v59, v56 offset:32
	ds_load_u16 v60, v57 offset:8
	;; [unrolled: 1-line block ×7, first 2 shown]
	v_mul_u32_u24_e32 v38, 0x10001, v38
	s_delay_alu instid0(VALU_DEP_1)
	v_pk_mul_f16 v37, v54, v38
	v_pk_mul_f16 v54, v55, v38
	;; [unrolled: 1-line block ×8, first 2 shown]
	s_wait_dscnt 0x7
	v_mul_u32_u24_e32 v39, 0x10001, v39
	s_wait_dscnt 0x5
	v_mul_u32_u24_e32 v51, 0x10001, v60
	;; [unrolled: 2-line block ×4, first 2 shown]
	v_mul_u32_u24_e32 v59, 0x10001, v59
	s_wait_dscnt 0x2
	v_mul_u32_u24_e32 v61, 0x10001, v63
	s_wait_dscnt 0x1
	;; [unrolled: 2-line block ×3, first 2 shown]
	v_mul_u32_u24_e32 v63, 0x10001, v65
	s_wait_loadcnt 0xe
	v_pk_fma_f16 v49, v80, v39, v49
	v_pk_fma_f16 v37, v76, v39, v37
	v_pk_fma_f16 v54, v77, v39, v54
	v_pk_fma_f16 v52, v78, v39, v52
	v_pk_fma_f16 v53, v79, v39, v53
	v_pk_fma_f16 v50, v81, v39, v50
	v_pk_fma_f16 v48, v82, v39, v48
	v_pk_fma_f16 v38, v83, v39, v38
	s_wait_loadcnt 0xd
	v_pk_fma_f16 v37, v84, v51, v37
	v_pk_fma_f16 v39, v85, v51, v54
	v_pk_fma_f16 v52, v86, v51, v52
	v_pk_fma_f16 v53, v87, v51, v53
	s_wait_loadcnt 0xc
	v_pk_fma_f16 v49, v88, v51, v49
	v_pk_fma_f16 v50, v89, v51, v50
	v_pk_fma_f16 v48, v90, v51, v48
	v_pk_fma_f16 v38, v91, v51, v38
	;; [unrolled: 5-line block ×14, first 2 shown]
	s_cbranch_scc1 .LBB14_25
; %bb.23:                               ;   in Loop: Header=BB14_6 Depth=1
	v_mov_b32_e32 v59, v12
	s_branch .LBB14_6
.LBB14_24:
	v_dual_mov_b32 v54, 0 :: v_dual_mov_b32 v52, 0
	s_wait_loadcnt 0x0
	v_dual_mov_b32 v12, 0xfeffffff :: v_dual_mov_b32 v55, 0
	v_dual_mov_b32 v49, 0 :: v_dual_mov_b32 v53, 0
	;; [unrolled: 1-line block ×3, first 2 shown]
	v_mov_b32_e32 v51, 0
.LBB14_25:
	v_or_b32_e32 v0, s40, v44
	s_cmp_lg_u64 s[12:13], 0
	s_cselect_b32 s2, -1, 0
	s_delay_alu instid0(VALU_DEP_1) | instskip(SKIP_1) | instid1(SALU_CYCLE_1)
	v_cmp_eq_u32_e32 vcc_lo, 0, v0
	s_and_b32 s3, vcc_lo, s2
	s_and_saveexec_b32 s2, s3
	s_cbranch_execz .LBB14_27
; %bb.26:
	v_dual_mov_b32 v0, s29 :: v_dual_max_num_f32 v2, v12, v12
	global_load_b32 v0, v0, s[12:13] scale_offset
	s_wait_loadcnt 0x0
	v_max_num_f32_e32 v3, v0, v0
	s_delay_alu instid0(VALU_DEP_1) | instskip(NEXT) | instid1(VALU_DEP_1)
	v_max_num_f32_e32 v2, v2, v3
	v_sub_f32_e32 v0, v0, v2
	s_delay_alu instid0(VALU_DEP_1) | instskip(NEXT) | instid1(VALU_DEP_1)
	v_mul_f32_e32 v5, 0x3fb8aa3b, v0
	v_fma_f32 v8, 0x3fb8aa3b, v0, -v5
	v_sub_f32_e32 v3, v12, v2
	v_rndne_f32_e32 v9, v5
	v_mov_b32_e32 v12, v2
	s_delay_alu instid0(VALU_DEP_4) | instskip(NEXT) | instid1(VALU_DEP_3)
	v_fmac_f32_e32 v8, 0x32a5705f, v0
	v_dual_mul_f32 v4, 0x3fb8aa3b, v3 :: v_dual_sub_f32 v5, v5, v9
	v_cmp_ngt_f32_e32 vcc_lo, 0xc2ce8ed0, v3
	s_delay_alu instid0(VALU_DEP_2) | instskip(SKIP_1) | instid1(VALU_DEP_2)
	v_fma_f32 v6, 0x3fb8aa3b, v3, -v4
	v_rndne_f32_e32 v7, v4
	v_dual_add_f32 v5, v5, v8 :: v_dual_fmac_f32 v6, 0x32a5705f, v3
	s_delay_alu instid0(VALU_DEP_2) | instskip(NEXT) | instid1(VALU_DEP_2)
	v_sub_f32_e32 v4, v4, v7
	v_exp_f32_e32 v5, v5
	s_delay_alu instid0(VALU_DEP_1) | instskip(SKIP_2) | instid1(VALU_DEP_3)
	v_add_f32_e32 v4, v4, v6
	v_cvt_i32_f32_e32 v6, v7
	v_cvt_i32_f32_e32 v7, v9
	v_exp_f32_e32 v4, v4
	s_delay_alu instid0(TRANS32_DEP_2) | instid1(VALU_DEP_1)
	v_ldexp_f32 v5, v5, v7
	s_delay_alu instid0(TRANS32_DEP_1) | instskip(NEXT) | instid1(VALU_DEP_1)
	v_ldexp_f32 v4, v4, v6
	v_cndmask_b32_e32 v4, 0, v4, vcc_lo
	v_cmp_ngt_f32_e32 vcc_lo, 0xc2ce8ed0, v0
	s_delay_alu instid0(VALU_DEP_4) | instskip(SKIP_1) | instid1(VALU_DEP_4)
	v_cndmask_b32_e32 v5, 0, v5, vcc_lo
	v_cmp_nlt_f32_e32 vcc_lo, 0x42b17218, v3
	v_cndmask_b32_e32 v3, 0x7f800000, v4, vcc_lo
	v_cmp_nlt_f32_e32 vcc_lo, 0x42b17218, v0
	s_delay_alu instid0(VALU_DEP_2) | instskip(SKIP_2) | instid1(VALU_DEP_3)
	v_cvt_f16_f32_e32 v4, v3
	v_cndmask_b32_e32 v0, 0x7f800000, v5, vcc_lo
	v_cmp_eq_u32_e32 vcc_lo, 0, v43
	v_and_b32_e32 v4, 0xffff, v4
	s_delay_alu instid0(VALU_DEP_3) | instskip(NEXT) | instid1(VALU_DEP_1)
	v_cndmask_b32_e32 v0, 0, v0, vcc_lo
	v_fmac_f32_e32 v0, v47, v3
	s_delay_alu instid0(VALU_DEP_3) | instskip(NEXT) | instid1(VALU_DEP_2)
	v_mul_u32_u24_e32 v3, 0x10001, v4
	v_mov_b32_e32 v47, v0
	s_delay_alu instid0(VALU_DEP_2)
	v_pk_mul_f16 v54, v54, v3
	v_pk_mul_f16 v55, v55, v3
	;; [unrolled: 1-line block ×8, first 2 shown]
.LBB14_27:
	s_or_b32 exec_lo, exec_lo, s2
	s_delay_alu instid0(SALU_CYCLE_1)
	s_mov_b32 s2, exec_lo
	v_cmpx_eq_u32_e32 0, v44
; %bb.28:
	v_mov_b32_e32 v0, 0xfeffffff
	v_dual_mov_b32 v2, 0 :: v_dual_add_nc_u32 v3, 0x1000, v41
	ds_store_2addr_b32 v3, v0, v2 offset1:32
; %bb.29:
	s_or_b32 exec_lo, exec_lo, s2
	v_cmp_eq_u32_e32 vcc_lo, 0, v43
	v_lshlrev_b32_e32 v7, 2, v44
	s_wait_dscnt 0x0
	s_barrier_signal -1
	s_barrier_wait -1
	s_and_saveexec_b32 s2, vcc_lo
; %bb.30:
	ds_store_b32 v7, v12 offset:4096
; %bb.31:
	s_or_b32 exec_lo, exec_lo, s2
	s_wait_dscnt 0x0
	s_barrier_signal -1
	s_barrier_wait -1
	ds_load_b32 v0, v41 offset:4096
	v_xor_b32_e32 v3, 8, v45
	v_xor_b32_e32 v2, 16, v45
	s_load_b32 s1, s[0:1], 0xd4
	s_delay_alu instid0(VALU_DEP_1) | instskip(NEXT) | instid1(VALU_DEP_1)
	v_cmp_gt_i32_e64 s2, 32, v2
	v_cndmask_b32_e64 v2, v45, v2, s2
	s_delay_alu instid0(VALU_DEP_1) | instskip(SKIP_4) | instid1(VALU_DEP_1)
	v_lshlrev_b32_e32 v6, 2, v2
	s_wait_dscnt 0x0
	ds_bpermute_b32 v2, v6, v0
	s_wait_dscnt 0x0
	v_dual_max_num_f32 v0, v0, v0 :: v_dual_max_num_f32 v4, v2, v2
	v_max_num_f32_e32 v0, v0, v4
	v_cmp_gt_i32_e64 s2, 32, v3
	s_delay_alu instid0(VALU_DEP_1) | instskip(NEXT) | instid1(VALU_DEP_1)
	v_dual_cndmask_b32 v3, v45, v3, s2 :: v_dual_bitop2_b32 v4, 4, v45 bitop3:0x14
	v_cmp_gt_i32_e64 s2, 32, v4
	s_delay_alu instid0(VALU_DEP_2) | instskip(SKIP_3) | instid1(VALU_DEP_1)
	v_lshlrev_b32_e32 v2, 2, v3
	ds_bpermute_b32 v3, v2, v0
	s_wait_dscnt 0x0
	v_dual_cndmask_b32 v4, v45, v4, s2 :: v_dual_max_num_f32 v5, v3, v3
	v_dual_max_num_f32 v0, v0, v5 :: v_dual_lshlrev_b32 v3, 2, v4
	ds_bpermute_b32 v4, v3, v0
	s_wait_dscnt 0x0
	v_dual_max_num_f32 v8, v4, v4 :: v_dual_bitop2_b32 v5, 2, v45 bitop3:0x14
	s_delay_alu instid0(VALU_DEP_1) | instskip(NEXT) | instid1(VALU_DEP_1)
	v_cmp_gt_i32_e64 s2, 32, v5
	v_dual_max_num_f32 v0, v0, v8 :: v_dual_cndmask_b32 v5, v45, v5, s2
	v_xor_b32_e32 v8, 1, v45
	s_delay_alu instid0(VALU_DEP_1) | instskip(NEXT) | instid1(VALU_DEP_1)
	v_cmp_gt_i32_e64 s2, 32, v8
	v_dual_lshlrev_b32 v4, 2, v5 :: v_dual_cndmask_b32 v8, v45, v8, s2
	ds_bpermute_b32 v5, v4, v0
	s_wait_dscnt 0x0
	v_dual_max_num_f32 v9, v5, v5 :: v_dual_lshlrev_b32 v5, 2, v8
	s_delay_alu instid0(VALU_DEP_1) | instskip(SKIP_3) | instid1(VALU_DEP_1)
	v_max_num_f32_e32 v0, v0, v9
	ds_bpermute_b32 v8, v5, v0
	s_wait_dscnt 0x0
	v_max_num_f32_e32 v8, v8, v8
	v_max_num_f32_e32 v0, v0, v8
	s_delay_alu instid0(VALU_DEP_1) | instskip(NEXT) | instid1(VALU_DEP_1)
	v_sub_f32_e32 v8, v12, v0
	v_mul_f32_e32 v9, 0x3fb8aa3b, v8
	v_cmp_ngt_f32_e64 s2, 0xc2ce8ed0, v8
	s_delay_alu instid0(VALU_DEP_2) | instskip(SKIP_1) | instid1(VALU_DEP_1)
	v_fma_f32 v10, 0x3fb8aa3b, v8, -v9
	v_rndne_f32_e32 v11, v9
	v_dual_fmamk_f32 v10, v8, 0x32a5705f, v10 :: v_dual_sub_f32 v9, v9, v11
	s_delay_alu instid0(VALU_DEP_1) | instskip(SKIP_1) | instid1(VALU_DEP_2)
	v_add_f32_e32 v9, v9, v10
	v_cvt_i32_f32_e32 v10, v11
	v_exp_f32_e32 v9, v9
	v_nop
	s_delay_alu instid0(TRANS32_DEP_1) | instskip(NEXT) | instid1(VALU_DEP_1)
	v_ldexp_f32 v9, v9, v10
	v_cndmask_b32_e64 v9, 0, v9, s2
	v_cmp_nlt_f32_e64 s2, 0x42b17218, v8
	s_delay_alu instid0(VALU_DEP_1) | instskip(NEXT) | instid1(VALU_DEP_1)
	v_cndmask_b32_e64 v8, 0x7f800000, v9, s2
	v_mul_f32_e32 v9, v47, v8
	ds_bpermute_b32 v9, v6, v9
	s_wait_dscnt 0x0
	v_fmac_f32_e32 v9, v47, v8
	v_cvt_f16_f32_e32 v8, v8
	ds_bpermute_b32 v10, v2, v9
	v_and_b32_e32 v11, 0xffff, v8
	s_delay_alu instid0(VALU_DEP_1) | instskip(NEXT) | instid1(VALU_DEP_1)
	v_mul_u32_u24_e32 v11, 0x10001, v11
	v_pk_mul_f16 v12, v54, v11
	v_pk_mul_f16 v15, v53, v11
	;; [unrolled: 1-line block ×8, first 2 shown]
	s_wait_dscnt 0x0
	v_add_f32_e32 v9, v9, v10
	ds_bpermute_b32 v10, v3, v9
	s_wait_dscnt 0x0
	v_add_f32_e32 v9, v9, v10
	ds_bpermute_b32 v10, v4, v9
	s_wait_dscnt 0x0
	v_dual_add_f32 v8, v9, v10 :: v_dual_lshlrev_b32 v10, 5, v43
	ds_bpermute_b32 v9, v5, v8
	v_and_b32_e32 v10, 0xf00, v10
	s_delay_alu instid0(VALU_DEP_1) | instskip(NEXT) | instid1(VALU_DEP_1)
	v_lshl_add_u32 v10, v44, 10, v10
	v_lshl_or_b32 v10, v42, 2, v10
	ds_store_2addr_b32 v10, v12, v15 offset1:3
	ds_store_2addr_b32 v10, v13, v14 offset0:1 offset1:2
	ds_store_2addr_b32 v10, v17, v18 offset0:33 offset1:34
	;; [unrolled: 1-line block ×3, first 2 shown]
	s_wait_xcnt 0x0
	s_and_saveexec_b32 s0, vcc_lo
	s_cbranch_execz .LBB14_33
; %bb.32:
	s_wait_dscnt 0x4
	v_add_f32_e32 v8, v8, v9
	ds_store_b32 v7, v8 offset:4224
.LBB14_33:
	s_or_b32 exec_lo, exec_lo, s0
	s_wait_dscnt 0x0
	s_barrier_signal -1
	s_barrier_wait -1
	ds_load_u16 v7, v40
	ds_load_u16 v8, v40 offset:256
	ds_load_u16 v9, v40 offset:512
	;; [unrolled: 1-line block ×6, first 2 shown]
	s_mul_i32 s0, s26, s24
	s_delay_alu instid0(SALU_CYCLE_1) | instskip(NEXT) | instid1(SALU_CYCLE_1)
	s_add_co_i32 s0, s0, s33
	s_mul_i32 s0, s0, s25
	s_delay_alu instid0(SALU_CYCLE_1) | instskip(SKIP_2) | instid1(SALU_CYCLE_1)
	s_add_co_i32 s0, s0, s29
	s_wait_kmcnt 0x0
	s_mul_i32 s2, s1, s0
	s_add_co_i32 s2, s2, s40
	s_cmp_eq_u32 s1, 1
	s_wait_dscnt 0x6
	v_cvt_f32_f16_e32 v7, v7
	s_wait_dscnt 0x5
	v_cvt_f32_f16_e32 v8, v8
	;; [unrolled: 2-line block ×3, first 2 shown]
	s_cselect_b32 s0, -1, 0
	s_wait_dscnt 0x2
	v_cvt_f32_f16_e32 v11, v11
	v_add_f32_e32 v7, 0, v7
	s_cmp_lg_u32 s1, 1
	s_delay_alu instid0(VALU_DEP_1) | instskip(SKIP_1) | instid1(VALU_DEP_2)
	v_add_f32_e32 v7, v7, v8
	v_cvt_f32_f16_e32 v8, v10
	v_add_f32_e32 v9, v7, v9
	ds_load_u16 v10, v40 offset:1792
	ds_load_b32 v7, v41 offset:4224
	ds_load_u16 v14, v40 offset:2048
	v_add_f32_e32 v8, v9, v8
	s_wait_dscnt 0x4
	v_cvt_f32_f16_e32 v9, v12
	s_wait_dscnt 0x3
	v_cvt_f32_f16_e32 v12, v13
	v_add_f32_e32 v8, v8, v11
	ds_load_u16 v11, v40 offset:2304
	ds_load_u16 v13, v40 offset:2560
	;; [unrolled: 1-line block ×6, first 2 shown]
	v_add_f32_e32 v8, v8, v9
	s_wait_dscnt 0x8
	v_cvt_f32_f16_e32 v10, v10
	s_delay_alu instid0(VALU_DEP_2)
	v_add_f32_e32 v8, v8, v12
	s_wait_dscnt 0x7
	ds_bpermute_b32 v9, v6, v7
	s_wait_dscnt 0x7
	v_cvt_f32_f16_e32 v6, v14
	v_add_f32_e32 v8, v8, v10
	s_wait_dscnt 0x6
	v_cvt_f32_f16_e32 v10, v11
	s_delay_alu instid0(VALU_DEP_2)
	v_add_f32_e32 v6, v8, v6
	s_wait_dscnt 0x5
	v_cvt_f32_f16_e32 v11, v13
	s_wait_dscnt 0x4
	v_cvt_f32_f16_e32 v8, v15
	v_add_f32_e32 v6, v6, v10
	s_delay_alu instid0(VALU_DEP_1) | instskip(SKIP_1) | instid1(VALU_DEP_1)
	v_add_f32_e32 v6, v6, v11
	s_wait_dscnt 0x0
	v_pk_add_f32 v[6:7], v[6:7], v[8:9]
	v_cvt_f32_f16_e32 v8, v16
	ds_bpermute_b32 v9, v2, v7
	v_cvt_f32_f16_e32 v2, v17
	s_wait_dscnt 0x0
	v_pk_add_f32 v[6:7], v[6:7], v[8:9]
	ds_bpermute_b32 v3, v3, v7
	s_wait_dscnt 0x0
	v_pk_add_f32 v[2:3], v[6:7], v[2:3]
	v_cvt_f32_f16_e32 v6, v18
	ds_bpermute_b32 v7, v4, v3
	ds_load_u16 v4, v40 offset:3840
	s_wait_dscnt 0x1
	v_pk_add_f32 v[2:3], v[2:3], v[6:7]
	s_wait_dscnt 0x0
	v_cvt_f32_f16_e32 v4, v4
	ds_bpermute_b32 v5, v5, v3
	s_wait_dscnt 0x0
	v_pk_add_f32 v[2:3], v[2:3], v[4:5]
	s_delay_alu instid0(VALU_DEP_1) | instskip(SKIP_1) | instid1(VALU_DEP_2)
	v_div_scale_f32 v4, null, v3, v3, v2
	v_div_scale_f32 v7, vcc_lo, v2, v3, v2
	v_rcp_f32_e32 v5, v4
	v_nop
	s_delay_alu instid0(TRANS32_DEP_1) | instskip(NEXT) | instid1(VALU_DEP_1)
	v_fma_f32 v6, -v4, v5, 1.0
	v_fmac_f32_e32 v5, v6, v5
	s_delay_alu instid0(VALU_DEP_1) | instskip(NEXT) | instid1(VALU_DEP_1)
	v_mul_f32_e32 v6, v7, v5
	v_fma_f32 v8, -v4, v6, v7
	s_delay_alu instid0(VALU_DEP_1) | instskip(NEXT) | instid1(VALU_DEP_1)
	v_fmac_f32_e32 v6, v8, v5
	v_fma_f32 v4, -v4, v6, v7
	s_delay_alu instid0(VALU_DEP_1) | instskip(SKIP_2) | instid1(VALU_DEP_3)
	v_div_fmas_f32 v4, v4, v5, v6
	v_cmp_eq_u32_e32 vcc_lo, 0, v1
	v_lshl_or_b32 v1, s2, 7, v1
	v_div_fixup_f32 v4, v4, v3, v2
	s_delay_alu instid0(VALU_DEP_1) | instskip(SKIP_1) | instid1(SALU_CYCLE_1)
	v_cndmask_b32_e64 v2, v2, v4, s0
	s_cselect_b32 s0, -1, 0
	s_and_b32 s0, vcc_lo, s0
	global_store_b32 v1, v2, s[16:17] scale_offset
	s_wait_xcnt 0x0
	s_and_saveexec_b32 s1, s0
	s_cbranch_execz .LBB14_35
; %bb.34:
	v_dual_mov_b32 v1, v3 :: v_dual_mov_b32 v2, s2
	global_store_b64 v2, v[0:1], s[18:19] scale_offset
.LBB14_35:
	s_sendmsg sendmsg(MSG_DEALLOC_VGPRS)
	s_endpgm
	.section	.rodata,"a",@progbits
	.p2align	6, 0x0
	.amdhsa_kernel _ZL18flash_attn_ext_vecILi128ELi1EL9ggml_type1ELS0_1ELb0EEvPKcS2_S2_S2_S2_PKiPfP15HIP_vector_typeIfLj2EEffffjfiS6_IjLj3EEiiiiiiiiiiiliiliiiiil
		.amdhsa_group_segment_fixed_size 4352
		.amdhsa_private_segment_fixed_size 0
		.amdhsa_kernarg_size 464
		.amdhsa_user_sgpr_count 2
		.amdhsa_user_sgpr_dispatch_ptr 0
		.amdhsa_user_sgpr_queue_ptr 0
		.amdhsa_user_sgpr_kernarg_segment_ptr 1
		.amdhsa_user_sgpr_dispatch_id 0
		.amdhsa_user_sgpr_kernarg_preload_length 0
		.amdhsa_user_sgpr_kernarg_preload_offset 0
		.amdhsa_user_sgpr_private_segment_size 0
		.amdhsa_wavefront_size32 1
		.amdhsa_uses_dynamic_stack 0
		.amdhsa_enable_private_segment 0
		.amdhsa_system_sgpr_workgroup_id_x 1
		.amdhsa_system_sgpr_workgroup_id_y 1
		.amdhsa_system_sgpr_workgroup_id_z 1
		.amdhsa_system_sgpr_workgroup_info 0
		.amdhsa_system_vgpr_workitem_id 1
		.amdhsa_next_free_vgpr 142
		.amdhsa_next_free_sgpr 44
		.amdhsa_named_barrier_count 0
		.amdhsa_reserve_vcc 1
		.amdhsa_float_round_mode_32 0
		.amdhsa_float_round_mode_16_64 0
		.amdhsa_float_denorm_mode_32 3
		.amdhsa_float_denorm_mode_16_64 3
		.amdhsa_fp16_overflow 0
		.amdhsa_memory_ordered 1
		.amdhsa_forward_progress 1
		.amdhsa_inst_pref_size 61
		.amdhsa_round_robin_scheduling 0
		.amdhsa_exception_fp_ieee_invalid_op 0
		.amdhsa_exception_fp_denorm_src 0
		.amdhsa_exception_fp_ieee_div_zero 0
		.amdhsa_exception_fp_ieee_overflow 0
		.amdhsa_exception_fp_ieee_underflow 0
		.amdhsa_exception_fp_ieee_inexact 0
		.amdhsa_exception_int_div_zero 0
	.end_amdhsa_kernel
	.section	.text._ZL18flash_attn_ext_vecILi128ELi1EL9ggml_type1ELS0_1ELb0EEvPKcS2_S2_S2_S2_PKiPfP15HIP_vector_typeIfLj2EEffffjfiS6_IjLj3EEiiiiiiiiiiiliiliiiiil,"axG",@progbits,_ZL18flash_attn_ext_vecILi128ELi1EL9ggml_type1ELS0_1ELb0EEvPKcS2_S2_S2_S2_PKiPfP15HIP_vector_typeIfLj2EEffffjfiS6_IjLj3EEiiiiiiiiiiiliiliiiiil,comdat
.Lfunc_end14:
	.size	_ZL18flash_attn_ext_vecILi128ELi1EL9ggml_type1ELS0_1ELb0EEvPKcS2_S2_S2_S2_PKiPfP15HIP_vector_typeIfLj2EEffffjfiS6_IjLj3EEiiiiiiiiiiiliiliiiiil, .Lfunc_end14-_ZL18flash_attn_ext_vecILi128ELi1EL9ggml_type1ELS0_1ELb0EEvPKcS2_S2_S2_S2_PKiPfP15HIP_vector_typeIfLj2EEffffjfiS6_IjLj3EEiiiiiiiiiiiliiliiiiil
                                        ; -- End function
	.set _ZL18flash_attn_ext_vecILi128ELi1EL9ggml_type1ELS0_1ELb0EEvPKcS2_S2_S2_S2_PKiPfP15HIP_vector_typeIfLj2EEffffjfiS6_IjLj3EEiiiiiiiiiiiliiliiiiil.num_vgpr, 142
	.set _ZL18flash_attn_ext_vecILi128ELi1EL9ggml_type1ELS0_1ELb0EEvPKcS2_S2_S2_S2_PKiPfP15HIP_vector_typeIfLj2EEffffjfiS6_IjLj3EEiiiiiiiiiiiliiliiiiil.num_agpr, 0
	.set _ZL18flash_attn_ext_vecILi128ELi1EL9ggml_type1ELS0_1ELb0EEvPKcS2_S2_S2_S2_PKiPfP15HIP_vector_typeIfLj2EEffffjfiS6_IjLj3EEiiiiiiiiiiiliiliiiiil.numbered_sgpr, 44
	.set _ZL18flash_attn_ext_vecILi128ELi1EL9ggml_type1ELS0_1ELb0EEvPKcS2_S2_S2_S2_PKiPfP15HIP_vector_typeIfLj2EEffffjfiS6_IjLj3EEiiiiiiiiiiiliiliiiiil.num_named_barrier, 0
	.set _ZL18flash_attn_ext_vecILi128ELi1EL9ggml_type1ELS0_1ELb0EEvPKcS2_S2_S2_S2_PKiPfP15HIP_vector_typeIfLj2EEffffjfiS6_IjLj3EEiiiiiiiiiiiliiliiiiil.private_seg_size, 0
	.set _ZL18flash_attn_ext_vecILi128ELi1EL9ggml_type1ELS0_1ELb0EEvPKcS2_S2_S2_S2_PKiPfP15HIP_vector_typeIfLj2EEffffjfiS6_IjLj3EEiiiiiiiiiiiliiliiiiil.uses_vcc, 1
	.set _ZL18flash_attn_ext_vecILi128ELi1EL9ggml_type1ELS0_1ELb0EEvPKcS2_S2_S2_S2_PKiPfP15HIP_vector_typeIfLj2EEffffjfiS6_IjLj3EEiiiiiiiiiiiliiliiiiil.uses_flat_scratch, 0
	.set _ZL18flash_attn_ext_vecILi128ELi1EL9ggml_type1ELS0_1ELb0EEvPKcS2_S2_S2_S2_PKiPfP15HIP_vector_typeIfLj2EEffffjfiS6_IjLj3EEiiiiiiiiiiiliiliiiiil.has_dyn_sized_stack, 0
	.set _ZL18flash_attn_ext_vecILi128ELi1EL9ggml_type1ELS0_1ELb0EEvPKcS2_S2_S2_S2_PKiPfP15HIP_vector_typeIfLj2EEffffjfiS6_IjLj3EEiiiiiiiiiiiliiliiiiil.has_recursion, 0
	.set _ZL18flash_attn_ext_vecILi128ELi1EL9ggml_type1ELS0_1ELb0EEvPKcS2_S2_S2_S2_PKiPfP15HIP_vector_typeIfLj2EEffffjfiS6_IjLj3EEiiiiiiiiiiiliiliiiiil.has_indirect_call, 0
	.section	.AMDGPU.csdata,"",@progbits
; Kernel info:
; codeLenInByte = 7696
; TotalNumSgprs: 46
; NumVgprs: 142
; ScratchSize: 0
; MemoryBound: 0
; FloatMode: 240
; IeeeMode: 1
; LDSByteSize: 4352 bytes/workgroup (compile time only)
; SGPRBlocks: 0
; VGPRBlocks: 8
; NumSGPRsForWavesPerEU: 46
; NumVGPRsForWavesPerEU: 142
; NamedBarCnt: 0
; Occupancy: 7
; WaveLimiterHint : 1
; COMPUTE_PGM_RSRC2:SCRATCH_EN: 0
; COMPUTE_PGM_RSRC2:USER_SGPR: 2
; COMPUTE_PGM_RSRC2:TRAP_HANDLER: 0
; COMPUTE_PGM_RSRC2:TGID_X_EN: 1
; COMPUTE_PGM_RSRC2:TGID_Y_EN: 1
; COMPUTE_PGM_RSRC2:TGID_Z_EN: 1
; COMPUTE_PGM_RSRC2:TIDIG_COMP_CNT: 1
	.section	.text._ZL33flash_attn_stream_k_fixup_uniformILi128ELi1ELi1EEvPfPK15HIP_vector_typeIfLj2EEiiiiiiS1_IjLj3EES5_S5_,"axG",@progbits,_ZL33flash_attn_stream_k_fixup_uniformILi128ELi1ELi1EEvPfPK15HIP_vector_typeIfLj2EEiiiiiiS1_IjLj3EES5_S5_,comdat
	.globl	_ZL33flash_attn_stream_k_fixup_uniformILi128ELi1ELi1EEvPfPK15HIP_vector_typeIfLj2EEiiiiiiS1_IjLj3EES5_S5_ ; -- Begin function _ZL33flash_attn_stream_k_fixup_uniformILi128ELi1ELi1EEvPfPK15HIP_vector_typeIfLj2EEiiiiiiS1_IjLj3EES5_S5_
	.p2align	8
	.type	_ZL33flash_attn_stream_k_fixup_uniformILi128ELi1ELi1EEvPfPK15HIP_vector_typeIfLj2EEiiiiiiS1_IjLj3EES5_S5_,@function
_ZL33flash_attn_stream_k_fixup_uniformILi128ELi1ELi1EEvPfPK15HIP_vector_typeIfLj2EEiiiiiiS1_IjLj3EES5_S5_: ; @_ZL33flash_attn_stream_k_fixup_uniformILi128ELi1ELi1EEvPfPK15HIP_vector_typeIfLj2EEiiiiiiS1_IjLj3EES5_S5_
; %bb.0:
	s_load_b256 s[4:11], s[0:1], 0x1c
	s_bfe_u32 s2, ttmp6, 0x40014
	s_lshr_b32 s3, ttmp7, 16
	s_add_co_i32 s2, s2, 1
	s_bfe_u32 s13, ttmp6, 0x40010
	s_mul_i32 s2, s3, s2
	s_bfe_u32 s12, ttmp6, 0x40008
	s_and_b32 s14, ttmp7, 0xffff
	s_add_co_i32 s13, s13, 1
	s_bfe_u32 s15, ttmp6, 0x4000c
	s_add_co_i32 s2, s12, s2
	s_mul_i32 s12, s14, s13
	s_bfe_u32 s13, ttmp6, 0x40004
	s_add_co_i32 s15, s15, 1
	s_add_co_i32 s13, s13, s12
	s_and_b32 s12, ttmp6, 15
	s_mul_i32 s15, ttmp9, s15
	s_getreg_b32 s20, hwreg(HW_REG_IB_STS2, 6, 4)
	s_add_co_i32 s12, s12, s15
	s_load_b128 s[16:19], s[0:1], 0x3c
	s_cmp_eq_u32 s20, 0
	s_cselect_b32 s12, ttmp9, s12
	s_cselect_b32 s13, s14, s13
	s_wait_kmcnt 0x0
	s_mul_hi_u32 s14, s7, s12
	s_cselect_b32 s7, s3, s2
	s_add_co_i32 s2, s12, s14
	s_delay_alu instid0(SALU_CYCLE_1) | instskip(NEXT) | instid1(SALU_CYCLE_1)
	s_lshr_b32 s14, s2, s8
	s_mul_i32 s2, s14, s9
	s_delay_alu instid0(SALU_CYCLE_1) | instskip(SKIP_2) | instid1(SALU_CYCLE_1)
	s_sub_co_i32 s8, s12, s2
	s_load_b64 s[2:3], s[0:1], 0x10
	s_mul_hi_u32 s9, s8, s10
	s_add_co_i32 s9, s8, s9
	s_delay_alu instid0(SALU_CYCLE_1) | instskip(NEXT) | instid1(SALU_CYCLE_1)
	s_lshr_b32 s15, s9, s11
	s_mul_i32 s9, s15, s16
	s_delay_alu instid0(SALU_CYCLE_1) | instskip(NEXT) | instid1(SALU_CYCLE_1)
	s_sub_co_i32 s8, s8, s9
	s_mul_hi_u32 s9, s8, s17
	s_delay_alu instid0(SALU_CYCLE_1) | instskip(NEXT) | instid1(SALU_CYCLE_1)
	s_add_co_i32 s9, s8, s9
	s_lshr_b32 s17, s9, s18
	s_delay_alu instid0(SALU_CYCLE_1) | instskip(NEXT) | instid1(SALU_CYCLE_1)
	s_mul_i32 s9, s17, s19
	s_sub_co_i32 s16, s8, s9
	s_delay_alu instid0(SALU_CYCLE_1) | instskip(SKIP_4) | instid1(SALU_CYCLE_1)
	s_add_co_i32 s16, s16, s13
	s_wait_kmcnt 0x0
	s_cmp_lt_i32 s16, s2
	s_cselect_b32 s8, -1, 0
	s_add_co_i32 s17, s17, s7
	s_cmp_lt_i32 s17, s5
	s_cselect_b32 s9, -1, 0
	s_delay_alu instid0(SALU_CYCLE_1) | instskip(NEXT) | instid1(SALU_CYCLE_1)
	s_and_b32 s8, s8, s9
	s_and_not1_b32 vcc_lo, exec_lo, s8
	s_cbranch_vccnz .LBB15_6
; %bb.1:
	s_load_b128 s[8:11], s[0:1], 0x0
	s_mul_i32 s14, s14, s2
	s_mul_i32 s15, s15, s5
	s_wait_xcnt 0x0
	s_add_co_i32 s0, s16, s14
	s_add_co_i32 s1, s17, s15
	s_mul_i32 s0, s0, s3
	s_mul_i32 s5, s6, s12
	s_add_co_i32 s1, s1, s0
	s_add_co_i32 s7, s13, s7
	v_lshl_or_b32 v4, s1, 7, v0
	s_add_co_i32 s6, s5, s6
	s_delay_alu instid0(SALU_CYCLE_1) | instskip(SKIP_4) | instid1(SALU_CYCLE_1)
	s_add_co_i32 s2, s7, s6
	s_add_co_i32 s12, s6, -2
	s_add_co_i32 s0, s2, -1
	v_ashrrev_i32_e32 v5, 31, v4
	s_ashr_i32 s1, s0, 31
	s_lshl_b64 s[0:1], s[0:1], 3
	s_cmp_lt_i32 s12, s5
	s_wait_kmcnt 0x0
	global_load_b32 v3, v4, s[8:9] scale_offset
	s_add_nc_u64 s[0:1], s[10:11], s[0:1]
	s_load_b32 s3, s[0:1], 0x4
	s_cbranch_scc1 .LBB15_4
; %bb.2:
	s_wait_xcnt 0x0
	s_load_b32 s0, s[0:1], 0x0
	v_lshl_or_b32 v0, s2, 7, v0
	s_lshl_b32 s12, s4, 2
	s_wait_kmcnt 0x0
	v_mov_b32_e32 v2, s3
	s_ashr_i32 s13, s12, 31
	s_add_co_i32 s1, s6, -1
	v_add_nc_u32_e32 v0, 0xffffff00, v0
	s_lshl_b64 s[12:13], s[12:13], 2
	s_add_co_i32 s4, s7, s4
	s_add_nc_u64 s[2:3], s[10:11], s[12:13]
.LBB15_3:                               ; =>This Inner Loop Header: Depth=1
	global_load_b32 v7, v0, s[2:3] scale_offset
	s_add_co_i32 s1, s1, -1
	v_max_num_f32_e64 v1, s0, s0
	s_add_co_i32 s6, s1, s4
	s_delay_alu instid0(SALU_CYCLE_1) | instskip(NEXT) | instid1(SALU_CYCLE_1)
	s_ashr_i32 s7, s6, 31
	s_lshl_b64 s[6:7], s[6:7], 3
	s_delay_alu instid0(VALU_DEP_1)
	v_readfirstlane_b32 s12, v1
	s_add_nc_u64 s[6:7], s[10:11], s[6:7]
	s_load_b64 s[6:7], s[6:7], 0x0
	v_add_nc_u32_e32 v0, 0xffffff80, v0
	s_wait_kmcnt 0x0
	v_max_num_f32_e64 v1, s6, s6
	s_delay_alu instid0(VALU_DEP_1) | instskip(SKIP_1) | instid1(SALU_CYCLE_3)
	v_readfirstlane_b32 s13, v1
	s_max_num_f32 s12, s12, s13
	s_sub_f32 s0, s0, s12
	s_sub_f32 s6, s6, s12
	s_delay_alu instid0(SALU_CYCLE_2) | instskip(NEXT) | instid1(SALU_CYCLE_2)
	s_mul_f32 s13, s0, 0x3fb8aa3b
	s_mul_f32 s14, s6, 0x3fb8aa3b
	s_delay_alu instid0(SALU_CYCLE_2)
	s_xor_b32 s15, s13, 0x80000000
	s_rndne_f32 s16, s13
	s_fmamk_f32 s15, s0, 0x3fb8aa3b, s15
	s_cmp_nlt_f32 s0, 0xc2ce8ed0
	s_rndne_f32 s17, s14
	s_sub_f32 s13, s13, s16
	s_fmamk_f32 s15, s0, 0x32a5705f, s15
	s_cselect_b32 vcc_lo, -1, 0
	s_cmp_ngt_f32 s0, 0x42b17218
	s_delay_alu instid0(SALU_CYCLE_1) | instskip(SKIP_2) | instid1(SALU_CYCLE_1)
	s_add_f32 s13, s13, s15
	s_cvt_i32_f32 s15, s16
	s_sub_f32 s16, s14, s17
	v_s_exp_f32 s13, s13
	v_nop
	s_delay_alu instid0(TRANS32_DEP_1) | instskip(SKIP_1) | instid1(VALU_DEP_1)
	v_ldexp_f32 v1, s13, s15
	s_cvt_i32_f32 s13, s17
	v_cndmask_b32_e32 v1, 0, v1, vcc_lo
	s_cselect_b32 vcc_lo, -1, 0
	s_cmp_ge_f32 s0, 0xc1a00000
	s_delay_alu instid0(VALU_DEP_1)
	v_cndmask_b32_e32 v1, 0x7f800000, v1, vcc_lo
	s_cselect_b32 vcc_lo, -1, 0
	s_xor_b32 s0, s14, 0x80000000
	s_cmp_nlt_f32 s6, 0xc2ce8ed0
	s_fmamk_f32 s0, s6, 0x3fb8aa3b, s0
	v_cndmask_b32_e32 v10, 0, v1, vcc_lo
	s_delay_alu instid0(SALU_CYCLE_2) | instskip(NEXT) | instid1(SALU_CYCLE_3)
	s_fmamk_f32 s0, s6, 0x32a5705f, s0
	s_add_f32 s0, s16, s0
	s_delay_alu instid0(SALU_CYCLE_3) | instskip(SKIP_1) | instid1(TRANS32_DEP_1)
	v_s_exp_f32 s0, s0
	v_nop
	v_ldexp_f32 v6, s0, s13
	s_cselect_b32 s0, -1, 0
	s_cmp_ngt_f32 s6, 0x42b17218
	s_delay_alu instid0(VALU_DEP_1) | instskip(SKIP_2) | instid1(VALU_DEP_1)
	v_cndmask_b32_e64 v6, 0, v6, s0
	s_cselect_b32 s0, -1, 0
	s_cmp_ge_f32 s6, 0xc1a00000
	v_cndmask_b32_e64 v8, 0x7f800000, v6, s0
	s_cselect_b32 s0, -1, 0
	v_mov_b32_e32 v6, s7
	s_cmp_le_i32 s1, s5
	s_delay_alu instid0(VALU_DEP_2) | instskip(SKIP_2) | instid1(VALU_DEP_1)
	v_cndmask_b32_e64 v8, 0, v8, s0
	s_mov_b32 s0, s12
	s_wait_loadcnt 0x0
	v_pk_mul_f32 v[6:7], v[6:7], v[8:9] op_sel_hi:[1,0]
	s_delay_alu instid0(VALU_DEP_1)
	v_pk_fma_f32 v[2:3], v[2:3], v[10:11], v[6:7] op_sel_hi:[1,0,1]
	s_cbranch_scc0 .LBB15_3
	s_branch .LBB15_5
.LBB15_4:
	s_wait_kmcnt 0x0
	v_mov_b32_e32 v2, s3
.LBB15_5:
	v_lshl_add_u64 v[0:1], v[4:5], 2, s[8:9]
	s_wait_loadcnt 0x0
	s_delay_alu instid0(VALU_DEP_2) | instskip(NEXT) | instid1(VALU_DEP_1)
	v_div_scale_f32 v4, null, v2, v2, v3
	v_rcp_f32_e32 v5, v4
	v_nop
	s_delay_alu instid0(TRANS32_DEP_1) | instskip(NEXT) | instid1(VALU_DEP_1)
	v_fma_f32 v6, -v4, v5, 1.0
	v_fmac_f32_e32 v5, v6, v5
	v_div_scale_f32 v6, vcc_lo, v3, v2, v3
	s_delay_alu instid0(VALU_DEP_1) | instskip(NEXT) | instid1(VALU_DEP_1)
	v_mul_f32_e32 v7, v6, v5
	v_fma_f32 v8, -v4, v7, v6
	s_delay_alu instid0(VALU_DEP_1) | instskip(NEXT) | instid1(VALU_DEP_1)
	v_fmac_f32_e32 v7, v8, v5
	v_fma_f32 v4, -v4, v7, v6
	s_delay_alu instid0(VALU_DEP_1) | instskip(NEXT) | instid1(VALU_DEP_1)
	v_div_fmas_f32 v4, v4, v5, v7
	v_div_fixup_f32 v2, v4, v2, v3
	global_store_b32 v[0:1], v2, off
.LBB15_6:
	s_endpgm
	.section	.rodata,"a",@progbits
	.p2align	6, 0x0
	.amdhsa_kernel _ZL33flash_attn_stream_k_fixup_uniformILi128ELi1ELi1EEvPfPK15HIP_vector_typeIfLj2EEiiiiiiS1_IjLj3EES5_S5_
		.amdhsa_group_segment_fixed_size 0
		.amdhsa_private_segment_fixed_size 0
		.amdhsa_kernarg_size 76
		.amdhsa_user_sgpr_count 2
		.amdhsa_user_sgpr_dispatch_ptr 0
		.amdhsa_user_sgpr_queue_ptr 0
		.amdhsa_user_sgpr_kernarg_segment_ptr 1
		.amdhsa_user_sgpr_dispatch_id 0
		.amdhsa_user_sgpr_kernarg_preload_length 0
		.amdhsa_user_sgpr_kernarg_preload_offset 0
		.amdhsa_user_sgpr_private_segment_size 0
		.amdhsa_wavefront_size32 1
		.amdhsa_uses_dynamic_stack 0
		.amdhsa_enable_private_segment 0
		.amdhsa_system_sgpr_workgroup_id_x 1
		.amdhsa_system_sgpr_workgroup_id_y 1
		.amdhsa_system_sgpr_workgroup_id_z 1
		.amdhsa_system_sgpr_workgroup_info 0
		.amdhsa_system_vgpr_workitem_id 0
		.amdhsa_next_free_vgpr 12
		.amdhsa_next_free_sgpr 21
		.amdhsa_named_barrier_count 0
		.amdhsa_reserve_vcc 1
		.amdhsa_float_round_mode_32 0
		.amdhsa_float_round_mode_16_64 0
		.amdhsa_float_denorm_mode_32 3
		.amdhsa_float_denorm_mode_16_64 3
		.amdhsa_fp16_overflow 0
		.amdhsa_memory_ordered 1
		.amdhsa_forward_progress 1
		.amdhsa_inst_pref_size 8
		.amdhsa_round_robin_scheduling 0
		.amdhsa_exception_fp_ieee_invalid_op 0
		.amdhsa_exception_fp_denorm_src 0
		.amdhsa_exception_fp_ieee_div_zero 0
		.amdhsa_exception_fp_ieee_overflow 0
		.amdhsa_exception_fp_ieee_underflow 0
		.amdhsa_exception_fp_ieee_inexact 0
		.amdhsa_exception_int_div_zero 0
	.end_amdhsa_kernel
	.section	.text._ZL33flash_attn_stream_k_fixup_uniformILi128ELi1ELi1EEvPfPK15HIP_vector_typeIfLj2EEiiiiiiS1_IjLj3EES5_S5_,"axG",@progbits,_ZL33flash_attn_stream_k_fixup_uniformILi128ELi1ELi1EEvPfPK15HIP_vector_typeIfLj2EEiiiiiiS1_IjLj3EES5_S5_,comdat
.Lfunc_end15:
	.size	_ZL33flash_attn_stream_k_fixup_uniformILi128ELi1ELi1EEvPfPK15HIP_vector_typeIfLj2EEiiiiiiS1_IjLj3EES5_S5_, .Lfunc_end15-_ZL33flash_attn_stream_k_fixup_uniformILi128ELi1ELi1EEvPfPK15HIP_vector_typeIfLj2EEiiiiiiS1_IjLj3EES5_S5_
                                        ; -- End function
	.set _ZL33flash_attn_stream_k_fixup_uniformILi128ELi1ELi1EEvPfPK15HIP_vector_typeIfLj2EEiiiiiiS1_IjLj3EES5_S5_.num_vgpr, 12
	.set _ZL33flash_attn_stream_k_fixup_uniformILi128ELi1ELi1EEvPfPK15HIP_vector_typeIfLj2EEiiiiiiS1_IjLj3EES5_S5_.num_agpr, 0
	.set _ZL33flash_attn_stream_k_fixup_uniformILi128ELi1ELi1EEvPfPK15HIP_vector_typeIfLj2EEiiiiiiS1_IjLj3EES5_S5_.numbered_sgpr, 21
	.set _ZL33flash_attn_stream_k_fixup_uniformILi128ELi1ELi1EEvPfPK15HIP_vector_typeIfLj2EEiiiiiiS1_IjLj3EES5_S5_.num_named_barrier, 0
	.set _ZL33flash_attn_stream_k_fixup_uniformILi128ELi1ELi1EEvPfPK15HIP_vector_typeIfLj2EEiiiiiiS1_IjLj3EES5_S5_.private_seg_size, 0
	.set _ZL33flash_attn_stream_k_fixup_uniformILi128ELi1ELi1EEvPfPK15HIP_vector_typeIfLj2EEiiiiiiS1_IjLj3EES5_S5_.uses_vcc, 1
	.set _ZL33flash_attn_stream_k_fixup_uniformILi128ELi1ELi1EEvPfPK15HIP_vector_typeIfLj2EEiiiiiiS1_IjLj3EES5_S5_.uses_flat_scratch, 0
	.set _ZL33flash_attn_stream_k_fixup_uniformILi128ELi1ELi1EEvPfPK15HIP_vector_typeIfLj2EEiiiiiiS1_IjLj3EES5_S5_.has_dyn_sized_stack, 0
	.set _ZL33flash_attn_stream_k_fixup_uniformILi128ELi1ELi1EEvPfPK15HIP_vector_typeIfLj2EEiiiiiiS1_IjLj3EES5_S5_.has_recursion, 0
	.set _ZL33flash_attn_stream_k_fixup_uniformILi128ELi1ELi1EEvPfPK15HIP_vector_typeIfLj2EEiiiiiiS1_IjLj3EES5_S5_.has_indirect_call, 0
	.section	.AMDGPU.csdata,"",@progbits
; Kernel info:
; codeLenInByte = 1016
; TotalNumSgprs: 23
; NumVgprs: 12
; ScratchSize: 0
; MemoryBound: 0
; FloatMode: 240
; IeeeMode: 1
; LDSByteSize: 0 bytes/workgroup (compile time only)
; SGPRBlocks: 0
; VGPRBlocks: 0
; NumSGPRsForWavesPerEU: 23
; NumVGPRsForWavesPerEU: 12
; NamedBarCnt: 0
; Occupancy: 16
; WaveLimiterHint : 0
; COMPUTE_PGM_RSRC2:SCRATCH_EN: 0
; COMPUTE_PGM_RSRC2:USER_SGPR: 2
; COMPUTE_PGM_RSRC2:TRAP_HANDLER: 0
; COMPUTE_PGM_RSRC2:TGID_X_EN: 1
; COMPUTE_PGM_RSRC2:TGID_Y_EN: 1
; COMPUTE_PGM_RSRC2:TGID_Z_EN: 1
; COMPUTE_PGM_RSRC2:TIDIG_COMP_CNT: 0
	.section	.text._ZL33flash_attn_stream_k_fixup_generalILi128ELi1ELi1EEvPfPK15HIP_vector_typeIfLj2EEiiiiS1_IjLj3EES5_S5_S5_,"axG",@progbits,_ZL33flash_attn_stream_k_fixup_generalILi128ELi1ELi1EEvPfPK15HIP_vector_typeIfLj2EEiiiiS1_IjLj3EES5_S5_S5_,comdat
	.globl	_ZL33flash_attn_stream_k_fixup_generalILi128ELi1ELi1EEvPfPK15HIP_vector_typeIfLj2EEiiiiS1_IjLj3EES5_S5_S5_ ; -- Begin function _ZL33flash_attn_stream_k_fixup_generalILi128ELi1ELi1EEvPfPK15HIP_vector_typeIfLj2EEiiiiS1_IjLj3EES5_S5_S5_
	.p2align	8
	.type	_ZL33flash_attn_stream_k_fixup_generalILi128ELi1ELi1EEvPfPK15HIP_vector_typeIfLj2EEiiiiS1_IjLj3EES5_S5_S5_,@function
_ZL33flash_attn_stream_k_fixup_generalILi128ELi1ELi1EEvPfPK15HIP_vector_typeIfLj2EEiiiiS1_IjLj3EES5_S5_S5_: ; @_ZL33flash_attn_stream_k_fixup_generalILi128ELi1ELi1EEvPfPK15HIP_vector_typeIfLj2EEiiiiS1_IjLj3EES5_S5_S5_
; %bb.0:
	s_clause 0x1
	s_load_b128 s[4:7], s[0:1], 0x10
	s_load_b32 s16, s[0:1], 0x50
	s_bfe_u32 s2, ttmp6, 0x4000c
	s_and_b32 s3, ttmp6, 15
	s_add_co_i32 s2, s2, 1
	s_getreg_b32 s15, hwreg(HW_REG_IB_STS2, 6, 4)
	s_mul_i32 s2, ttmp9, s2
	s_mov_b32 s17, 0
	s_add_co_i32 s3, s3, s2
	s_cmp_eq_u32 s15, 0
	s_cselect_b32 s2, ttmp9, s3
	s_delay_alu instid0(SALU_CYCLE_1) | instskip(SKIP_3) | instid1(SALU_CYCLE_1)
	s_ashr_i32 s3, s2, 31
	s_wait_kmcnt 0x0
	s_ashr_i32 s19, s7, 31
	s_mov_b32 s18, s7
	s_mul_u64 s[8:9], s[18:19], s[2:3]
	s_delay_alu instid0(SALU_CYCLE_1) | instskip(NEXT) | instid1(SALU_CYCLE_1)
	s_and_b64 s[10:11], s[8:9], 0xffffffff00000000
	s_cmp_lg_u64 s[10:11], 0
	s_cbranch_scc0 .LBB16_21
; %bb.1:
	s_add_nc_u64 s[10:11], s[16:17], 0
	s_mov_b32 s23, s17
	s_xor_b64 s[10:11], s[10:11], 0
	s_mov_b32 s27, s17
	s_cvt_f32_u32 s3, s10
	s_cvt_f32_u32 s7, s11
	s_sub_nc_u64 s[20:21], 0, s[10:11]
	s_delay_alu instid0(SALU_CYCLE_2) | instskip(NEXT) | instid1(SALU_CYCLE_3)
	s_fmamk_f32 s3, s7, 0x4f800000, s3
	v_s_rcp_f32 s3, s3
	s_delay_alu instid0(TRANS32_DEP_1) | instskip(NEXT) | instid1(SALU_CYCLE_3)
	s_mul_f32 s3, s3, 0x5f7ffffc
	s_mul_f32 s7, s3, 0x2f800000
	s_delay_alu instid0(SALU_CYCLE_3) | instskip(NEXT) | instid1(SALU_CYCLE_3)
	s_trunc_f32 s7, s7
	s_fmamk_f32 s3, s7, 0xcf800000, s3
	s_cvt_u32_f32 s13, s7
	s_delay_alu instid0(SALU_CYCLE_2) | instskip(NEXT) | instid1(SALU_CYCLE_3)
	s_cvt_u32_f32 s12, s3
	s_mul_u64 s[24:25], s[20:21], s[12:13]
	s_delay_alu instid0(SALU_CYCLE_1)
	s_mul_hi_u32 s29, s12, s25
	s_mul_i32 s28, s12, s25
	s_mul_hi_u32 s22, s12, s24
	s_mul_i32 s7, s13, s24
	s_add_nc_u64 s[22:23], s[22:23], s[28:29]
	s_mul_hi_u32 s3, s13, s24
	s_mul_hi_u32 s14, s13, s25
	s_add_co_u32 s7, s22, s7
	s_add_co_ci_u32 s26, s23, s3
	s_mul_i32 s24, s13, s25
	s_add_co_ci_u32 s25, s14, 0
	s_delay_alu instid0(SALU_CYCLE_1) | instskip(SKIP_3) | instid1(SALU_CYCLE_1)
	s_add_nc_u64 s[22:23], s[26:27], s[24:25]
	s_mov_b32 s25, s17
	s_add_co_u32 s12, s12, s22
	s_cselect_b32 s3, -1, 0
	s_cmp_lg_u32 s3, 0
	s_add_co_ci_u32 s13, s13, s23
	s_mov_b32 s23, s17
	s_mul_u64 s[20:21], s[20:21], s[12:13]
	s_delay_alu instid0(SALU_CYCLE_1)
	s_mul_hi_u32 s27, s12, s21
	s_mul_i32 s26, s12, s21
	s_mul_hi_u32 s22, s12, s20
	s_mul_i32 s7, s13, s20
	s_add_nc_u64 s[22:23], s[22:23], s[26:27]
	s_mul_hi_u32 s3, s13, s20
	s_mul_hi_u32 s14, s13, s21
	s_add_co_u32 s7, s22, s7
	s_add_co_ci_u32 s24, s23, s3
	s_mul_i32 s20, s13, s21
	s_add_co_ci_u32 s21, s14, 0
	s_mov_b32 s23, s17
	s_add_nc_u64 s[20:21], s[24:25], s[20:21]
	s_delay_alu instid0(SALU_CYCLE_1) | instskip(SKIP_1) | instid1(SALU_CYCLE_1)
	s_add_co_u32 s3, s12, s20
	s_cselect_b32 s7, -1, 0
	s_cmp_lg_u32 s7, 0
	s_add_co_ci_u32 s7, s13, s21
	s_ashr_i32 s12, s9, 31
	s_delay_alu instid0(SALU_CYCLE_1) | instskip(NEXT) | instid1(SALU_CYCLE_1)
	s_mov_b32 s13, s12
	s_add_nc_u64 s[20:21], s[8:9], s[12:13]
	s_delay_alu instid0(SALU_CYCLE_1) | instskip(NEXT) | instid1(SALU_CYCLE_1)
	s_xor_b64 s[20:21], s[20:21], s[12:13]
	s_mul_hi_u32 s27, s20, s7
	s_mul_i32 s26, s20, s7
	s_mul_hi_u32 s22, s20, s3
	s_mul_hi_u32 s14, s21, s3
	s_mul_i32 s3, s21, s3
	s_add_nc_u64 s[22:23], s[22:23], s[26:27]
	s_mul_hi_u32 s9, s21, s7
	s_add_co_u32 s3, s22, s3
	s_add_co_ci_u32 s24, s23, s14
	s_mul_i32 s26, s21, s7
	s_add_co_ci_u32 s27, s9, 0
	s_delay_alu instid0(SALU_CYCLE_1) | instskip(NEXT) | instid1(SALU_CYCLE_1)
	s_add_nc_u64 s[22:23], s[24:25], s[26:27]
	s_and_b64 s[24:25], s[22:23], 0xffffffff00000000
	s_delay_alu instid0(SALU_CYCLE_1) | instskip(NEXT) | instid1(SALU_CYCLE_1)
	s_or_b32 s24, s24, s22
	s_mul_u64 s[22:23], s[10:11], s[24:25]
	s_add_nc_u64 s[26:27], s[24:25], 1
	s_sub_co_u32 s3, s20, s22
	s_cselect_b32 s7, -1, 0
	s_sub_co_i32 s9, s21, s23
	s_cmp_lg_u32 s7, 0
	s_add_nc_u64 s[28:29], s[24:25], 2
	s_sub_co_ci_u32 s9, s9, s11
	s_sub_co_u32 s14, s3, s10
	s_cselect_b32 s20, -1, 0
	s_delay_alu instid0(SALU_CYCLE_1) | instskip(SKIP_1) | instid1(SALU_CYCLE_1)
	s_cmp_lg_u32 s20, 0
	s_sub_co_ci_u32 s9, s9, 0
	s_cmp_ge_u32 s9, s11
	s_cselect_b32 s20, -1, 0
	s_cmp_ge_u32 s14, s10
	s_cselect_b32 s14, -1, 0
	s_cmp_eq_u32 s9, s11
	s_cselect_b32 s9, s14, s20
	s_delay_alu instid0(SALU_CYCLE_1) | instskip(SKIP_4) | instid1(SALU_CYCLE_1)
	s_cmp_lg_u32 s9, 0
	s_cselect_b32 s9, s28, s26
	s_cselect_b32 s14, s29, s27
	s_cmp_lg_u32 s7, 0
	s_sub_co_ci_u32 s7, s21, s23
	s_cmp_ge_u32 s7, s11
	s_cselect_b32 s20, -1, 0
	s_cmp_ge_u32 s3, s10
	s_cselect_b32 s3, -1, 0
	s_cmp_eq_u32 s7, s11
	s_cselect_b32 s3, s3, s20
	s_delay_alu instid0(SALU_CYCLE_1) | instskip(SKIP_4) | instid1(SALU_CYCLE_1)
	s_cmp_lg_u32 s3, 0
	s_mov_b32 s3, s17
	s_cselect_b32 s11, s14, s25
	s_cselect_b32 s10, s9, s24
	s_xor_b64 s[12:13], s[12:13], 0
	s_xor_b64 s[10:11], s[10:11], s[12:13]
	s_delay_alu instid0(SALU_CYCLE_1)
	s_sub_nc_u64 s[20:21], s[10:11], s[12:13]
	s_and_not1_b32 vcc_lo, exec_lo, s3
	s_cbranch_vccnz .LBB16_3
.LBB16_2:
	v_cvt_f32_u32_e32 v1, s16
	s_sub_co_i32 s7, 0, s16
	s_mov_b32 s21, 0
	s_delay_alu instid0(VALU_DEP_1) | instskip(SKIP_1) | instid1(TRANS32_DEP_1)
	v_rcp_iflag_f32_e32 v1, v1
	v_nop
	v_mul_f32_e32 v1, 0x4f7ffffe, v1
	s_delay_alu instid0(VALU_DEP_1) | instskip(NEXT) | instid1(VALU_DEP_1)
	v_cvt_u32_f32_e32 v1, v1
	v_readfirstlane_b32 s3, v1
	s_mul_i32 s7, s7, s3
	s_delay_alu instid0(SALU_CYCLE_1) | instskip(NEXT) | instid1(SALU_CYCLE_1)
	s_mul_hi_u32 s7, s3, s7
	s_add_co_i32 s3, s3, s7
	s_delay_alu instid0(SALU_CYCLE_1) | instskip(NEXT) | instid1(SALU_CYCLE_1)
	s_mul_hi_u32 s3, s8, s3
	s_mul_i32 s7, s3, s16
	s_delay_alu instid0(SALU_CYCLE_1)
	s_sub_co_i32 s7, s8, s7
	s_add_co_i32 s8, s3, 1
	s_sub_co_i32 s9, s7, s16
	s_cmp_ge_u32 s7, s16
	s_cselect_b32 s3, s8, s3
	s_cselect_b32 s7, s9, s7
	s_add_co_i32 s8, s3, 1
	s_cmp_ge_u32 s7, s16
	s_cselect_b32 s20, s8, s3
.LBB16_3:
	s_add_co_i32 s8, s2, 1
	s_delay_alu instid0(SALU_CYCLE_1) | instskip(NEXT) | instid1(SALU_CYCLE_1)
	s_ashr_i32 s9, s8, 31
	s_mul_u64 s[8:9], s[18:19], s[8:9]
	s_delay_alu instid0(SALU_CYCLE_1) | instskip(NEXT) | instid1(SALU_CYCLE_1)
	s_and_b64 s[10:11], s[8:9], 0xffffffff00000000
	s_cmp_lg_u64 s[10:11], 0
	s_cbranch_scc0 .LBB16_22
; %bb.4:
	s_add_nc_u64 s[10:11], s[16:17], 0
	s_delay_alu instid0(SALU_CYCLE_1) | instskip(SKIP_4) | instid1(SALU_CYCLE_2)
	s_xor_b64 s[12:13], s[10:11], 0
	s_mov_b32 s11, 0
	s_cvt_f32_u32 s3, s12
	s_cvt_f32_u32 s7, s13
	s_sub_nc_u64 s[24:25], 0, s[12:13]
	s_fmamk_f32 s3, s7, 0x4f800000, s3
	s_delay_alu instid0(SALU_CYCLE_3) | instskip(NEXT) | instid1(TRANS32_DEP_1)
	v_s_rcp_f32 s3, s3
	s_mul_f32 s3, s3, 0x5f7ffffc
	s_delay_alu instid0(SALU_CYCLE_3) | instskip(NEXT) | instid1(SALU_CYCLE_3)
	s_mul_f32 s7, s3, 0x2f800000
	s_trunc_f32 s7, s7
	s_delay_alu instid0(SALU_CYCLE_3) | instskip(SKIP_1) | instid1(SALU_CYCLE_2)
	s_fmamk_f32 s3, s7, 0xcf800000, s3
	s_cvt_u32_f32 s23, s7
	s_cvt_u32_f32 s22, s3
	s_delay_alu instid0(SALU_CYCLE_3) | instskip(NEXT) | instid1(SALU_CYCLE_1)
	s_mul_u64 s[26:27], s[24:25], s[22:23]
	s_mul_hi_u32 s29, s22, s27
	s_mul_i32 s28, s22, s27
	s_mul_hi_u32 s10, s22, s26
	s_mul_i32 s7, s23, s26
	s_add_nc_u64 s[28:29], s[10:11], s[28:29]
	s_mul_hi_u32 s3, s23, s26
	s_mul_hi_u32 s14, s23, s27
	s_add_co_u32 s7, s28, s7
	s_add_co_ci_u32 s10, s29, s3
	s_mul_i32 s26, s23, s27
	s_add_co_ci_u32 s27, s14, 0
	s_delay_alu instid0(SALU_CYCLE_1) | instskip(NEXT) | instid1(SALU_CYCLE_1)
	s_add_nc_u64 s[26:27], s[10:11], s[26:27]
	s_add_co_u32 s22, s22, s26
	s_cselect_b32 s3, -1, 0
	s_delay_alu instid0(SALU_CYCLE_1) | instskip(SKIP_1) | instid1(SALU_CYCLE_1)
	s_cmp_lg_u32 s3, 0
	s_add_co_ci_u32 s23, s23, s27
	s_mul_u64 s[24:25], s[24:25], s[22:23]
	s_delay_alu instid0(SALU_CYCLE_1)
	s_mul_hi_u32 s27, s22, s25
	s_mul_i32 s26, s22, s25
	s_mul_hi_u32 s10, s22, s24
	s_mul_i32 s7, s23, s24
	s_add_nc_u64 s[26:27], s[10:11], s[26:27]
	s_mul_hi_u32 s3, s23, s24
	s_mul_hi_u32 s14, s23, s25
	s_add_co_u32 s7, s26, s7
	s_add_co_ci_u32 s10, s27, s3
	s_mul_i32 s24, s23, s25
	s_add_co_ci_u32 s25, s14, 0
	s_delay_alu instid0(SALU_CYCLE_1) | instskip(NEXT) | instid1(SALU_CYCLE_1)
	s_add_nc_u64 s[24:25], s[10:11], s[24:25]
	s_add_co_u32 s3, s22, s24
	s_cselect_b32 s7, -1, 0
	s_delay_alu instid0(SALU_CYCLE_1) | instskip(SKIP_2) | instid1(SALU_CYCLE_1)
	s_cmp_lg_u32 s7, 0
	s_add_co_ci_u32 s7, s23, s25
	s_ashr_i32 s22, s9, 31
	s_mov_b32 s23, s22
	s_delay_alu instid0(SALU_CYCLE_1) | instskip(NEXT) | instid1(SALU_CYCLE_1)
	s_add_nc_u64 s[24:25], s[8:9], s[22:23]
	s_xor_b64 s[24:25], s[24:25], s[22:23]
	s_delay_alu instid0(SALU_CYCLE_1)
	s_mul_hi_u32 s27, s24, s7
	s_mul_i32 s26, s24, s7
	s_mul_hi_u32 s10, s24, s3
	s_mul_hi_u32 s14, s25, s3
	s_mul_i32 s3, s25, s3
	s_add_nc_u64 s[26:27], s[10:11], s[26:27]
	s_mul_hi_u32 s9, s25, s7
	s_add_co_u32 s3, s26, s3
	s_add_co_ci_u32 s10, s27, s14
	s_mul_i32 s28, s25, s7
	s_add_co_ci_u32 s29, s9, 0
	s_delay_alu instid0(SALU_CYCLE_1) | instskip(NEXT) | instid1(SALU_CYCLE_1)
	s_add_nc_u64 s[26:27], s[10:11], s[28:29]
	s_and_b64 s[28:29], s[26:27], 0xffffffff00000000
	s_delay_alu instid0(SALU_CYCLE_1) | instskip(NEXT) | instid1(SALU_CYCLE_1)
	s_or_b32 s28, s28, s26
	s_mul_u64 s[26:27], s[12:13], s[28:29]
	s_add_nc_u64 s[30:31], s[28:29], 1
	s_sub_co_u32 s3, s24, s26
	s_cselect_b32 s7, -1, 0
	s_sub_co_i32 s9, s25, s27
	s_cmp_lg_u32 s7, 0
	s_add_nc_u64 s[34:35], s[28:29], 2
	s_sub_co_ci_u32 s9, s9, s13
	s_sub_co_u32 s10, s3, s12
	s_cselect_b32 s14, -1, 0
	s_delay_alu instid0(SALU_CYCLE_1) | instskip(SKIP_1) | instid1(SALU_CYCLE_1)
	s_cmp_lg_u32 s14, 0
	s_sub_co_ci_u32 s9, s9, 0
	s_cmp_ge_u32 s9, s13
	s_cselect_b32 s14, -1, 0
	s_cmp_ge_u32 s10, s12
	s_cselect_b32 s10, -1, 0
	s_cmp_eq_u32 s9, s13
	s_cselect_b32 s9, s10, s14
	s_delay_alu instid0(SALU_CYCLE_1) | instskip(SKIP_4) | instid1(SALU_CYCLE_1)
	s_cmp_lg_u32 s9, 0
	s_cselect_b32 s9, s34, s30
	s_cselect_b32 s10, s35, s31
	s_cmp_lg_u32 s7, 0
	s_sub_co_ci_u32 s7, s25, s27
	s_cmp_ge_u32 s7, s13
	s_cselect_b32 s14, -1, 0
	s_cmp_ge_u32 s3, s12
	s_cselect_b32 s3, -1, 0
	s_cmp_eq_u32 s7, s13
	s_cselect_b32 s3, s3, s14
	s_delay_alu instid0(SALU_CYCLE_1) | instskip(SKIP_3) | instid1(SALU_CYCLE_1)
	s_cmp_lg_u32 s3, 0
	s_cselect_b32 s13, s10, s29
	s_cselect_b32 s12, s9, s28
	s_xor_b64 s[22:23], s[22:23], 0
	s_xor_b64 s[12:13], s[12:13], s[22:23]
	s_delay_alu instid0(SALU_CYCLE_1)
	s_sub_nc_u64 s[24:25], s[12:13], s[22:23]
	s_load_b96 s[12:14], s[0:1], 0x44
	s_cbranch_execnz .LBB16_6
.LBB16_5:
	v_cvt_f32_u32_e32 v1, s16
	s_sub_co_i32 s7, 0, s16
	s_delay_alu instid0(VALU_DEP_1) | instskip(SKIP_1) | instid1(TRANS32_DEP_1)
	v_rcp_iflag_f32_e32 v1, v1
	v_nop
	v_mul_f32_e32 v1, 0x4f7ffffe, v1
	s_delay_alu instid0(VALU_DEP_1) | instskip(NEXT) | instid1(VALU_DEP_1)
	v_cvt_u32_f32_e32 v1, v1
	v_readfirstlane_b32 s3, v1
	s_mul_i32 s7, s7, s3
	s_delay_alu instid0(SALU_CYCLE_1) | instskip(NEXT) | instid1(SALU_CYCLE_1)
	s_mul_hi_u32 s7, s3, s7
	s_add_co_i32 s3, s3, s7
	s_delay_alu instid0(SALU_CYCLE_1) | instskip(NEXT) | instid1(SALU_CYCLE_1)
	s_mul_hi_u32 s3, s8, s3
	s_mul_i32 s7, s3, s16
	s_delay_alu instid0(SALU_CYCLE_1)
	s_sub_co_i32 s7, s8, s7
	s_add_co_i32 s8, s3, 1
	s_sub_co_i32 s9, s7, s16
	s_cmp_ge_u32 s7, s16
	s_cselect_b32 s3, s8, s3
	s_cselect_b32 s7, s9, s7
	s_add_co_i32 s8, s3, 1
	s_cmp_ge_u32 s7, s16
	s_cselect_b32 s24, s8, s3
.LBB16_6:
	s_delay_alu instid0(SALU_CYCLE_1)
	s_cmp_eq_u32 s20, s24
	s_mov_b64 s[8:9], 0xffffffff
	s_cselect_b32 s3, -1, 0
	s_and_b64 s[8:9], s[20:21], s[8:9]
	s_mov_b32 s23, 0
	s_wait_kmcnt 0x0
	s_mov_b32 s22, s12
	s_mov_b32 s25, s23
	s_mul_u64 s[10:11], s[8:9], s[22:23]
	s_delay_alu instid0(SALU_CYCLE_1) | instskip(SKIP_2) | instid1(SALU_CYCLE_1)
	s_add_co_i32 s7, s11, s20
	s_mul_u64 s[10:11], s[24:25], s[22:23]
	s_lshr_b32 s12, s7, s13
	s_mul_i32 s7, s12, s14
	s_delay_alu instid0(SALU_CYCLE_1) | instskip(SKIP_2) | instid1(SALU_CYCLE_1)
	s_cmp_eq_u32 s7, s20
	s_cselect_b32 s7, -1, 0
	s_add_co_i32 s10, s11, s24
	s_lshr_b32 s10, s10, s13
	s_delay_alu instid0(SALU_CYCLE_1)
	s_cmp_eq_u32 s12, s10
	s_mul_i32 s10, s10, s14
	s_cselect_b32 s11, -1, 0
	s_cmp_lg_u32 s10, s24
	s_cselect_b32 s10, -1, 0
	s_or_b32 s3, s3, s7
	s_and_b32 s10, s11, s10
	s_delay_alu instid0(SALU_CYCLE_1) | instskip(NEXT) | instid1(SALU_CYCLE_1)
	s_or_b32 s3, s3, s10
	s_and_b32 vcc_lo, exec_lo, s3
	s_cbranch_vccnz .LBB16_24
; %bb.7:
	s_load_b256 s[24:31], s[0:1], 0x20
	s_bfe_u32 s7, ttmp6, 0x40014
	s_bfe_u32 s33, ttmp6, 0x40010
	s_lshr_b32 s3, ttmp7, 16
	s_add_co_i32 s7, s7, 1
	s_and_b32 s21, ttmp7, 0xffff
	s_add_co_i32 s33, s33, 1
	s_bfe_u32 s10, ttmp6, 0x40008
	s_mul_i32 s7, s3, s7
	s_bfe_u32 s34, ttmp6, 0x40004
	s_mul_i32 s33, s21, s33
	s_mov_b32 s11, s23
	s_add_co_i32 s7, s10, s7
	s_add_co_i32 s34, s34, s33
	s_cmp_eq_u32 s15, 0
	s_cselect_b32 s15, s21, s34
	s_cselect_b32 s3, s3, s7
	s_wait_kmcnt 0x0
	s_mov_b32 s10, s24
	s_delay_alu instid0(SALU_CYCLE_1) | instskip(SKIP_2) | instid1(SALU_CYCLE_1)
	s_mul_u64 s[8:9], s[8:9], s[10:11]
	s_load_b32 s8, s[0:1], 0x40
	s_add_co_i32 s7, s9, s20
	s_lshr_b32 s7, s7, s25
	s_delay_alu instid0(SALU_CYCLE_1) | instskip(NEXT) | instid1(SALU_CYCLE_1)
	s_mul_i32 s9, s7, s26
	s_sub_co_i32 s9, s20, s9
	s_delay_alu instid0(SALU_CYCLE_1) | instskip(NEXT) | instid1(SALU_CYCLE_1)
	s_mul_hi_u32 s10, s9, s27
	s_add_co_i32 s10, s9, s10
	s_delay_alu instid0(SALU_CYCLE_1) | instskip(NEXT) | instid1(SALU_CYCLE_1)
	s_lshr_b32 s21, s10, s28
	s_mul_i32 s10, s21, s29
	s_delay_alu instid0(SALU_CYCLE_1) | instskip(NEXT) | instid1(SALU_CYCLE_1)
	s_sub_co_i32 s10, s9, s10
	s_mul_hi_u32 s9, s10, s30
	s_delay_alu instid0(SALU_CYCLE_1) | instskip(NEXT) | instid1(SALU_CYCLE_1)
	s_add_co_i32 s9, s10, s9
	s_lshr_b32 s25, s9, s31
	s_mov_b32 s9, s23
	s_wait_kmcnt 0x0
	s_mul_i32 s8, s25, s8
	s_delay_alu instid0(SALU_CYCLE_1) | instskip(NEXT) | instid1(SALU_CYCLE_1)
	s_sub_co_i32 s8, s10, s8
	s_mul_u64 s[10:11], s[8:9], s[22:23]
	s_delay_alu instid0(SALU_CYCLE_1) | instskip(NEXT) | instid1(SALU_CYCLE_1)
	s_add_co_i32 s8, s8, s11
	s_lshr_b32 s24, s8, s13
	s_delay_alu instid0(SALU_CYCLE_1) | instskip(NEXT) | instid1(SALU_CYCLE_1)
	s_add_co_i32 s24, s24, s15
	s_cmp_lt_i32 s24, s4
	s_cselect_b32 s8, -1, 0
	s_add_co_i32 s25, s25, s3
	s_delay_alu instid0(SALU_CYCLE_1) | instskip(SKIP_1) | instid1(SALU_CYCLE_1)
	s_cmp_lt_i32 s25, s6
	s_cselect_b32 s9, -1, 0
	s_and_b32 s8, s8, s9
	s_delay_alu instid0(SALU_CYCLE_1)
	s_and_not1_b32 vcc_lo, exec_lo, s8
	s_cbranch_vccnz .LBB16_24
; %bb.8:
	s_load_b128 s[8:11], s[0:1], 0x0
	s_mul_i32 s7, s7, s4
	s_mul_i32 s21, s21, s6
	s_wait_xcnt 0x0
	s_add_co_i32 s0, s24, s7
	s_add_co_i32 s1, s25, s21
	s_mul_i32 s0, s0, s5
	s_add_co_i32 s15, s15, s3
	s_add_co_i32 s1, s1, s0
	v_cvt_f32_u32_e32 v1, s16
	v_lshl_or_b32 v4, s1, 7, v0
	s_add_nc_u64 s[0:1], s[16:17], 0
	s_lshl_b32 s24, s16, 2
	s_xor_b64 s[6:7], s[0:1], 0
	s_add_co_i32 s0, s15, s2
	s_cvt_f32_u32 s3, s6
	s_cvt_f32_u32 s4, s7
	s_ashr_i32 s1, s0, 31
	v_rcp_iflag_f32_e32 v1, v1
	s_lshl_b64 s[0:1], s[0:1], 3
	s_fmamk_f32 s3, s4, 0x4f800000, s3
	s_wait_kmcnt 0x0
	global_load_b32 v3, v4, s[8:9] scale_offset
	s_add_nc_u64 s[0:1], s[10:11], s[0:1]
	s_mov_b32 s25, 0
	v_s_rcp_f32 s3, s3
	s_load_b64 s[28:29], s[0:1], 0x0
	v_ashrrev_i32_e32 v5, 31, v4
	s_wait_xcnt 0x0
	s_lshl_b64 s[0:1], s[24:25], 2
	v_mul_f32_e32 v1, 0x4f7ffffe, v1
	s_add_nc_u64 s[26:27], s[10:11], s[0:1]
	s_add_co_i32 s36, s2, -1
	s_sub_nc_u64 s[34:35], 0, s[6:7]
	s_mul_f32 s3, s3, 0x5f7ffffc
	v_cvt_u32_f32_e32 v1, v1
	s_delay_alu instid0(SALU_CYCLE_2) | instskip(NEXT) | instid1(SALU_CYCLE_3)
	s_mul_f32 s4, s3, 0x2f800000
	s_trunc_f32 s4, s4
	s_delay_alu instid0(SALU_CYCLE_3)
	s_fmamk_f32 s0, s4, 0xcf800000, s3
	s_wait_kmcnt 0x0
	v_mov_b32_e32 v2, s29
	v_lshl_add_u64 v[4:5], v[4:5], 2, s[8:9]
	s_cvt_u32_f32 s31, s4
	s_cvt_u32_f32 s30, s0
	s_mov_b64 s[8:9], 0xffffffff
.LBB16_9:                               ; =>This Inner Loop Header: Depth=1
	s_ashr_i32 s37, s36, 31
                                        ; implicit-def: $sgpr40_sgpr41
	s_delay_alu instid0(SALU_CYCLE_1) | instskip(NEXT) | instid1(SALU_CYCLE_1)
	s_mul_u64 s[0:1], s[36:37], s[18:19]
	s_and_b64 s[2:3], s[0:1], 0xffffffff00000000
	s_delay_alu instid0(SALU_CYCLE_1)
	s_cmp_lg_u64 s[2:3], 0
	s_mov_b32 s2, -1
	s_cbranch_scc0 .LBB16_11
; %bb.10:                               ;   in Loop: Header=BB16_9 Depth=1
	s_mul_u64 s[2:3], s[34:35], s[30:31]
	s_delay_alu instid0(SALU_CYCLE_1)
	s_mul_hi_u32 s5, s30, s3
	s_mul_i32 s4, s30, s3
	s_mul_hi_u32 s24, s30, s2
	s_mul_hi_u32 s17, s31, s2
	s_add_nc_u64 s[4:5], s[24:25], s[4:5]
	s_mul_i32 s2, s31, s2
	s_mul_hi_u32 s21, s31, s3
	s_add_co_u32 s2, s4, s2
	s_add_co_ci_u32 s24, s5, s17
	s_add_co_ci_u32 s5, s21, 0
	s_mul_i32 s4, s31, s3
	s_delay_alu instid0(SALU_CYCLE_1) | instskip(NEXT) | instid1(SALU_CYCLE_1)
	s_add_nc_u64 s[2:3], s[24:25], s[4:5]
	s_add_co_u32 s2, s30, s2
	s_cselect_b32 s4, -1, 0
	s_delay_alu instid0(SALU_CYCLE_1) | instskip(SKIP_1) | instid1(SALU_CYCLE_1)
	s_cmp_lg_u32 s4, 0
	s_add_co_ci_u32 s3, s31, s3
	s_mul_u64 s[4:5], s[34:35], s[2:3]
	s_delay_alu instid0(SALU_CYCLE_1)
	s_mul_hi_u32 s39, s2, s5
	s_mul_i32 s38, s2, s5
	s_mul_hi_u32 s24, s2, s4
	s_mul_hi_u32 s17, s3, s4
	s_mul_i32 s4, s3, s4
	s_add_nc_u64 s[38:39], s[24:25], s[38:39]
	s_mul_hi_u32 s21, s3, s5
	s_add_co_u32 s4, s38, s4
	s_add_co_ci_u32 s24, s39, s17
	s_mul_i32 s4, s3, s5
	s_add_co_ci_u32 s5, s21, 0
	s_delay_alu instid0(SALU_CYCLE_1) | instskip(NEXT) | instid1(SALU_CYCLE_1)
	s_add_nc_u64 s[4:5], s[24:25], s[4:5]
	s_add_co_u32 s17, s2, s4
	s_cselect_b32 s2, -1, 0
	s_delay_alu instid0(SALU_CYCLE_1) | instskip(SKIP_2) | instid1(SALU_CYCLE_1)
	s_cmp_lg_u32 s2, 0
	s_add_co_ci_u32 s21, s3, s5
	s_ashr_i32 s2, s1, 31
	s_mov_b32 s3, s2
	s_delay_alu instid0(SALU_CYCLE_1) | instskip(NEXT) | instid1(SALU_CYCLE_1)
	s_add_nc_u64 s[4:5], s[0:1], s[2:3]
	s_xor_b64 s[4:5], s[4:5], s[2:3]
	s_delay_alu instid0(SALU_CYCLE_1)
	s_mul_hi_u32 s39, s4, s21
	s_mul_i32 s38, s4, s21
	s_mul_hi_u32 s24, s4, s17
	s_mul_hi_u32 s29, s5, s17
	s_mul_i32 s17, s5, s17
	s_add_nc_u64 s[38:39], s[24:25], s[38:39]
	s_mul_hi_u32 s1, s5, s21
	s_add_co_u32 s17, s38, s17
	s_add_co_ci_u32 s24, s39, s29
	s_mul_i32 s40, s5, s21
	s_add_co_ci_u32 s41, s1, 0
	s_delay_alu instid0(SALU_CYCLE_1) | instskip(NEXT) | instid1(SALU_CYCLE_1)
	s_add_nc_u64 s[38:39], s[24:25], s[40:41]
	s_and_b64 s[40:41], s[38:39], 0xffffffff00000000
	s_delay_alu instid0(SALU_CYCLE_1) | instskip(NEXT) | instid1(SALU_CYCLE_1)
	s_or_b32 s40, s40, s38
	s_mul_u64 s[38:39], s[6:7], s[40:41]
	s_add_nc_u64 s[42:43], s[40:41], 1
	s_sub_co_u32 s1, s4, s38
	s_cselect_b32 s4, -1, 0
	s_sub_co_i32 s17, s5, s39
	s_cmp_lg_u32 s4, 0
	s_add_nc_u64 s[44:45], s[40:41], 2
	s_sub_co_ci_u32 s17, s17, s7
	s_sub_co_u32 s21, s1, s6
	s_cselect_b32 s24, -1, 0
	s_delay_alu instid0(SALU_CYCLE_1) | instskip(SKIP_1) | instid1(SALU_CYCLE_1)
	s_cmp_lg_u32 s24, 0
	s_sub_co_ci_u32 s17, s17, 0
	s_cmp_ge_u32 s17, s7
	s_cselect_b32 s24, -1, 0
	s_cmp_ge_u32 s21, s6
	s_cselect_b32 s21, -1, 0
	s_cmp_eq_u32 s17, s7
	s_cselect_b32 s17, s21, s24
	s_delay_alu instid0(SALU_CYCLE_1) | instskip(SKIP_4) | instid1(SALU_CYCLE_1)
	s_cmp_lg_u32 s17, 0
	s_cselect_b32 s17, s44, s42
	s_cselect_b32 s21, s45, s43
	s_cmp_lg_u32 s4, 0
	s_sub_co_ci_u32 s4, s5, s39
	s_cmp_ge_u32 s4, s7
	s_cselect_b32 s5, -1, 0
	s_cmp_ge_u32 s1, s6
	s_cselect_b32 s1, -1, 0
	s_cmp_eq_u32 s4, s7
	s_cselect_b32 s1, s1, s5
	s_delay_alu instid0(SALU_CYCLE_1) | instskip(SKIP_3) | instid1(SALU_CYCLE_1)
	s_cmp_lg_u32 s1, 0
	s_cselect_b32 s5, s21, s41
	s_cselect_b32 s4, s17, s40
	s_xor_b64 s[2:3], s[2:3], 0
	s_xor_b64 s[4:5], s[4:5], s[2:3]
	s_delay_alu instid0(SALU_CYCLE_1)
	s_sub_nc_u64 s[40:41], s[4:5], s[2:3]
	s_mov_b32 s2, 0
.LBB16_11:                              ;   in Loop: Header=BB16_9 Depth=1
	s_delay_alu instid0(SALU_CYCLE_1)
	s_and_not1_b32 vcc_lo, exec_lo, s2
	s_cbranch_vccnz .LBB16_13
; %bb.12:                               ;   in Loop: Header=BB16_9 Depth=1
	v_readfirstlane_b32 s1, v1
	s_sub_co_i32 s2, 0, s16
	s_delay_alu instid0(SALU_CYCLE_1) | instskip(NEXT) | instid1(SALU_CYCLE_1)
	s_mul_i32 s2, s2, s1
	s_mul_hi_u32 s2, s1, s2
	s_delay_alu instid0(SALU_CYCLE_1) | instskip(NEXT) | instid1(SALU_CYCLE_1)
	s_add_co_i32 s1, s1, s2
	s_mul_hi_u32 s1, s0, s1
	s_delay_alu instid0(SALU_CYCLE_1) | instskip(NEXT) | instid1(SALU_CYCLE_1)
	s_mul_i32 s2, s1, s16
	s_sub_co_i32 s0, s0, s2
	s_add_co_i32 s2, s1, 1
	s_sub_co_i32 s3, s0, s16
	s_cmp_ge_u32 s0, s16
	s_cselect_b32 s1, s2, s1
	s_cselect_b32 s0, s3, s0
	s_add_co_i32 s2, s1, 1
	s_cmp_ge_u32 s0, s16
	s_cselect_b32 s24, s2, s1
	s_delay_alu instid0(SALU_CYCLE_1)
	s_mov_b64 s[40:41], s[24:25]
.LBB16_13:                              ;   in Loop: Header=BB16_9 Depth=1
	s_delay_alu instid0(SALU_CYCLE_1)
	s_cmp_lg_u32 s20, s40
	s_mov_b32 s0, -1
                                        ; implicit-def: $vgpr6_vgpr7
                                        ; implicit-def: $sgpr24
                                        ; implicit-def: $sgpr17
                                        ; implicit-def: $sgpr21
                                        ; implicit-def: $sgpr29
	s_cbranch_scc0 .LBB16_18
; %bb.14:                               ;   in Loop: Header=BB16_9 Depth=1
	s_add_co_i32 s42, s36, s15
	v_max_num_f32_e64 v6, s28, s28
	s_add_co_i32 s0, s42, s16
	s_mov_b32 s29, s20
	s_load_b64 s[38:39], s[10:11], s0 offset:0x0 scale_offset
	s_wait_xcnt 0x0
	v_readfirstlane_b32 s0, v6
	s_wait_kmcnt 0x0
	v_max_num_f32_e64 v7, s38, s38
	s_delay_alu instid0(VALU_DEP_1) | instskip(SKIP_1) | instid1(SALU_CYCLE_3)
	v_readfirstlane_b32 s1, v7
	s_max_num_f32 s17, s0, s1
	s_sub_f32 s33, s28, s17
	s_sub_f32 s37, s38, s17
	s_delay_alu instid0(SALU_CYCLE_2)
	s_cmp_nlt_f32 s33, 0xc2ce8ed0
	s_cselect_b32 s1, -1, 0
	s_cmp_ngt_f32 s33, 0x42b17218
	s_cselect_b32 s2, -1, 0
	s_cmp_ge_f32 s33, 0xc1a00000
	s_cselect_b32 s0, -1, 0
	s_cmp_nlt_f32 s37, 0xc2ce8ed0
	s_cselect_b32 s3, -1, 0
	s_cmp_ngt_f32 s37, 0x42b17218
	s_cselect_b32 s4, -1, 0
	s_cmp_ge_f32 s37, 0xc1a00000
	s_cselect_b32 s5, -1, 0
	s_and_b64 s[44:45], s[40:41], s[8:9]
	s_delay_alu instid0(SALU_CYCLE_1) | instskip(NEXT) | instid1(SALU_CYCLE_1)
	s_mul_u64 s[44:45], s[44:45], s[22:23]
	s_add_co_i32 s21, s45, s40
	s_delay_alu instid0(SALU_CYCLE_1) | instskip(NEXT) | instid1(SALU_CYCLE_1)
	s_lshr_b32 s21, s21, s13
	s_mul_i32 s24, s21, s14
	s_delay_alu instid0(SALU_CYCLE_1) | instskip(SKIP_3) | instid1(SALU_CYCLE_1)
	s_cmp_eq_u32 s24, s40
	s_cselect_b32 s24, -1, 0
	s_cmp_lt_u32 s21, s12
	s_cselect_b32 s21, -1, 0
	s_or_b32 s21, s21, s24
	s_mov_b32 s24, -1
	s_and_b32 vcc_lo, exec_lo, s21
	s_mov_b32 s21, s36
	s_cbranch_vccnz .LBB16_16
; %bb.15:                               ;   in Loop: Header=BB16_9 Depth=1
	s_add_co_i32 s21, s36, -1
	s_mov_b32 s24, 0
	s_mov_b32 s29, s40
.LBB16_16:                              ;   in Loop: Header=BB16_9 Depth=1
	v_lshl_or_b32 v6, s42, 7, v0
	s_mul_f32 s38, s37, 0x3fb8aa3b
	s_mul_f32 s40, s33, 0x3fb8aa3b
	s_delay_alu instid0(SALU_CYCLE_2)
	s_xor_b32 s41, s38, 0x80000000
	global_load_b32 v7, v6, s[26:27] scale_offset
	s_fmamk_f32 s41, s37, 0x3fb8aa3b, s41
	s_rndne_f32 s43, s38
	s_xor_b32 s42, s40, 0x80000000
	s_rndne_f32 s44, s40
	s_fmamk_f32 s37, s37, 0x32a5705f, s41
	s_sub_f32 s38, s38, s43
	s_fmamk_f32 s42, s33, 0x3fb8aa3b, s42
	s_sub_f32 s40, s40, s44
	s_delay_alu instid0(SALU_CYCLE_1) | instskip(NEXT) | instid1(SALU_CYCLE_1)
	s_add_f32 s37, s38, s37
	s_fmamk_f32 s33, s33, 0x32a5705f, s42
	s_cvt_i32_f32 s38, s43
	s_delay_alu instid0(SALU_CYCLE_1) | instskip(NEXT) | instid1(SALU_CYCLE_1)
	v_s_exp_f32 s37, s37
	s_add_f32 s33, s40, s33
	s_cvt_i32_f32 s40, s44
	s_delay_alu instid0(SALU_CYCLE_2) | instskip(SKIP_1) | instid1(TRANS32_DEP_2)
	v_s_exp_f32 s33, s33
	s_wait_xcnt 0x0
	v_ldexp_f32 v6, s37, s38
	s_delay_alu instid0(TRANS32_DEP_1) | instskip(NEXT) | instid1(VALU_DEP_1)
	v_ldexp_f32 v8, s33, s40
	v_dual_cndmask_b32 v6, 0, v6, s3 :: v_dual_cndmask_b32 v8, 0, v8, s1
	s_delay_alu instid0(VALU_DEP_1) | instskip(NEXT) | instid1(VALU_DEP_2)
	v_cndmask_b32_e64 v6, 0x7f800000, v6, s4
	v_cndmask_b32_e64 v9, 0x7f800000, v8, s2
	s_delay_alu instid0(VALU_DEP_2) | instskip(NEXT) | instid1(VALU_DEP_2)
	v_dual_cndmask_b32 v8, 0, v6, s5 :: v_dual_mov_b32 v6, s39
	v_cndmask_b32_e64 v10, 0, v9, s0
	s_wait_loadcnt 0x0
	s_delay_alu instid0(VALU_DEP_2) | instskip(NEXT) | instid1(VALU_DEP_1)
	v_pk_mul_f32 v[6:7], v[6:7], v[8:9] op_sel_hi:[1,0]
	v_pk_fma_f32 v[6:7], v[2:3], v[10:11], v[6:7] op_sel_hi:[1,0,1]
	s_cbranch_execz .LBB16_19
.LBB16_17:                              ;   in Loop: Header=BB16_9 Depth=1
	s_and_not1_b32 vcc_lo, exec_lo, s24
	s_cbranch_vccnz .LBB16_20
	s_branch .LBB16_23
.LBB16_18:                              ;   in Loop: Header=BB16_9 Depth=1
	s_and_not1_b32 vcc_lo, exec_lo, s0
	s_cbranch_vccnz .LBB16_17
.LBB16_19:                              ;   in Loop: Header=BB16_9 Depth=1
	s_wait_loadcnt 0x0
	v_mov_b64_e32 v[6:7], v[2:3]
	s_add_co_i32 s21, s36, -1
	s_mov_b32 s29, s20
	s_mov_b32 s17, s28
	s_cbranch_execz .LBB16_23
.LBB16_20:                              ;   in Loop: Header=BB16_9 Depth=1
	s_wait_loadcnt 0x0
	s_delay_alu instid0(VALU_DEP_1)
	v_mov_b64_e32 v[2:3], v[6:7]
	s_mov_b32 s20, s29
	s_mov_b32 s36, s21
	s_mov_b32 s28, s17
	s_branch .LBB16_9
.LBB16_21:
                                        ; implicit-def: $sgpr20_sgpr21
	s_branch .LBB16_2
.LBB16_22:
                                        ; implicit-def: $sgpr24_sgpr25
	s_load_b96 s[12:14], s[0:1], 0x44
	s_branch .LBB16_5
.LBB16_23:
	s_delay_alu instid0(VALU_DEP_1) | instskip(NEXT) | instid1(VALU_DEP_1)
	v_div_scale_f32 v0, null, v6, v6, v7
	v_rcp_f32_e32 v1, v0
	v_nop
	s_delay_alu instid0(TRANS32_DEP_1) | instskip(NEXT) | instid1(VALU_DEP_1)
	v_fma_f32 v2, -v0, v1, 1.0
	v_fmac_f32_e32 v1, v2, v1
	v_div_scale_f32 v2, vcc_lo, v7, v6, v7
	s_wait_loadcnt 0x0
	s_delay_alu instid0(VALU_DEP_1) | instskip(NEXT) | instid1(VALU_DEP_1)
	v_mul_f32_e32 v3, v2, v1
	v_fma_f32 v8, -v0, v3, v2
	s_delay_alu instid0(VALU_DEP_1) | instskip(NEXT) | instid1(VALU_DEP_1)
	v_fmac_f32_e32 v3, v8, v1
	v_fma_f32 v0, -v0, v3, v2
	s_delay_alu instid0(VALU_DEP_1) | instskip(NEXT) | instid1(VALU_DEP_1)
	v_div_fmas_f32 v0, v0, v1, v3
	v_div_fixup_f32 v0, v0, v6, v7
	global_store_b32 v[4:5], v0, off
.LBB16_24:
	s_endpgm
	.section	.rodata,"a",@progbits
	.p2align	6, 0x0
	.amdhsa_kernel _ZL33flash_attn_stream_k_fixup_generalILi128ELi1ELi1EEvPfPK15HIP_vector_typeIfLj2EEiiiiS1_IjLj3EES5_S5_S5_
		.amdhsa_group_segment_fixed_size 0
		.amdhsa_private_segment_fixed_size 0
		.amdhsa_kernarg_size 336
		.amdhsa_user_sgpr_count 2
		.amdhsa_user_sgpr_dispatch_ptr 0
		.amdhsa_user_sgpr_queue_ptr 0
		.amdhsa_user_sgpr_kernarg_segment_ptr 1
		.amdhsa_user_sgpr_dispatch_id 0
		.amdhsa_user_sgpr_kernarg_preload_length 0
		.amdhsa_user_sgpr_kernarg_preload_offset 0
		.amdhsa_user_sgpr_private_segment_size 0
		.amdhsa_wavefront_size32 1
		.amdhsa_uses_dynamic_stack 0
		.amdhsa_enable_private_segment 0
		.amdhsa_system_sgpr_workgroup_id_x 1
		.amdhsa_system_sgpr_workgroup_id_y 1
		.amdhsa_system_sgpr_workgroup_id_z 1
		.amdhsa_system_sgpr_workgroup_info 0
		.amdhsa_system_vgpr_workitem_id 0
		.amdhsa_next_free_vgpr 12
		.amdhsa_next_free_sgpr 46
		.amdhsa_named_barrier_count 0
		.amdhsa_reserve_vcc 1
		.amdhsa_float_round_mode_32 0
		.amdhsa_float_round_mode_16_64 0
		.amdhsa_float_denorm_mode_32 3
		.amdhsa_float_denorm_mode_16_64 3
		.amdhsa_fp16_overflow 0
		.amdhsa_memory_ordered 1
		.amdhsa_forward_progress 1
		.amdhsa_inst_pref_size 26
		.amdhsa_round_robin_scheduling 0
		.amdhsa_exception_fp_ieee_invalid_op 0
		.amdhsa_exception_fp_denorm_src 0
		.amdhsa_exception_fp_ieee_div_zero 0
		.amdhsa_exception_fp_ieee_overflow 0
		.amdhsa_exception_fp_ieee_underflow 0
		.amdhsa_exception_fp_ieee_inexact 0
		.amdhsa_exception_int_div_zero 0
	.end_amdhsa_kernel
	.section	.text._ZL33flash_attn_stream_k_fixup_generalILi128ELi1ELi1EEvPfPK15HIP_vector_typeIfLj2EEiiiiS1_IjLj3EES5_S5_S5_,"axG",@progbits,_ZL33flash_attn_stream_k_fixup_generalILi128ELi1ELi1EEvPfPK15HIP_vector_typeIfLj2EEiiiiS1_IjLj3EES5_S5_S5_,comdat
.Lfunc_end16:
	.size	_ZL33flash_attn_stream_k_fixup_generalILi128ELi1ELi1EEvPfPK15HIP_vector_typeIfLj2EEiiiiS1_IjLj3EES5_S5_S5_, .Lfunc_end16-_ZL33flash_attn_stream_k_fixup_generalILi128ELi1ELi1EEvPfPK15HIP_vector_typeIfLj2EEiiiiS1_IjLj3EES5_S5_S5_
                                        ; -- End function
	.set _ZL33flash_attn_stream_k_fixup_generalILi128ELi1ELi1EEvPfPK15HIP_vector_typeIfLj2EEiiiiS1_IjLj3EES5_S5_S5_.num_vgpr, 12
	.set _ZL33flash_attn_stream_k_fixup_generalILi128ELi1ELi1EEvPfPK15HIP_vector_typeIfLj2EEiiiiS1_IjLj3EES5_S5_S5_.num_agpr, 0
	.set _ZL33flash_attn_stream_k_fixup_generalILi128ELi1ELi1EEvPfPK15HIP_vector_typeIfLj2EEiiiiS1_IjLj3EES5_S5_S5_.numbered_sgpr, 46
	.set _ZL33flash_attn_stream_k_fixup_generalILi128ELi1ELi1EEvPfPK15HIP_vector_typeIfLj2EEiiiiS1_IjLj3EES5_S5_S5_.num_named_barrier, 0
	.set _ZL33flash_attn_stream_k_fixup_generalILi128ELi1ELi1EEvPfPK15HIP_vector_typeIfLj2EEiiiiS1_IjLj3EES5_S5_S5_.private_seg_size, 0
	.set _ZL33flash_attn_stream_k_fixup_generalILi128ELi1ELi1EEvPfPK15HIP_vector_typeIfLj2EEiiiiS1_IjLj3EES5_S5_S5_.uses_vcc, 1
	.set _ZL33flash_attn_stream_k_fixup_generalILi128ELi1ELi1EEvPfPK15HIP_vector_typeIfLj2EEiiiiS1_IjLj3EES5_S5_S5_.uses_flat_scratch, 0
	.set _ZL33flash_attn_stream_k_fixup_generalILi128ELi1ELi1EEvPfPK15HIP_vector_typeIfLj2EEiiiiS1_IjLj3EES5_S5_S5_.has_dyn_sized_stack, 0
	.set _ZL33flash_attn_stream_k_fixup_generalILi128ELi1ELi1EEvPfPK15HIP_vector_typeIfLj2EEiiiiS1_IjLj3EES5_S5_S5_.has_recursion, 0
	.set _ZL33flash_attn_stream_k_fixup_generalILi128ELi1ELi1EEvPfPK15HIP_vector_typeIfLj2EEiiiiS1_IjLj3EES5_S5_S5_.has_indirect_call, 0
	.section	.AMDGPU.csdata,"",@progbits
; Kernel info:
; codeLenInByte = 3308
; TotalNumSgprs: 48
; NumVgprs: 12
; ScratchSize: 0
; MemoryBound: 0
; FloatMode: 240
; IeeeMode: 1
; LDSByteSize: 0 bytes/workgroup (compile time only)
; SGPRBlocks: 0
; VGPRBlocks: 0
; NumSGPRsForWavesPerEU: 48
; NumVGPRsForWavesPerEU: 12
; NamedBarCnt: 0
; Occupancy: 16
; WaveLimiterHint : 0
; COMPUTE_PGM_RSRC2:SCRATCH_EN: 0
; COMPUTE_PGM_RSRC2:USER_SGPR: 2
; COMPUTE_PGM_RSRC2:TRAP_HANDLER: 0
; COMPUTE_PGM_RSRC2:TGID_X_EN: 1
; COMPUTE_PGM_RSRC2:TGID_Y_EN: 1
; COMPUTE_PGM_RSRC2:TGID_Z_EN: 1
; COMPUTE_PGM_RSRC2:TIDIG_COMP_CNT: 0
	.section	.text._ZL26flash_attn_combine_resultsILi128EEvPKfPK15HIP_vector_typeIfLj2EEPfi,"axG",@progbits,_ZL26flash_attn_combine_resultsILi128EEvPKfPK15HIP_vector_typeIfLj2EEPfi,comdat
	.globl	_ZL26flash_attn_combine_resultsILi128EEvPKfPK15HIP_vector_typeIfLj2EEPfi ; -- Begin function _ZL26flash_attn_combine_resultsILi128EEvPKfPK15HIP_vector_typeIfLj2EEPfi
	.p2align	8
	.type	_ZL26flash_attn_combine_resultsILi128EEvPKfPK15HIP_vector_typeIfLj2EEPfi,@function
_ZL26flash_attn_combine_resultsILi128EEvPKfPK15HIP_vector_typeIfLj2EEPfi: ; @_ZL26flash_attn_combine_resultsILi128EEvPKfPK15HIP_vector_typeIfLj2EEPfi
; %bb.0:
	s_clause 0x2
	s_load_b128 s[4:7], s[0:1], 0x0
	s_load_b96 s[8:10], s[0:1], 0x10
	s_load_b64 s[2:3], s[0:1], 0x20
	s_bfe_u32 s11, ttmp6, 0x4000c
	s_wait_xcnt 0x0
	s_and_b32 s0, ttmp6, 15
	s_add_co_i32 s11, s11, 1
	s_and_b32 s12, ttmp7, 0xffff
	s_mul_i32 s1, ttmp9, s11
	s_bfe_u32 s11, ttmp6, 0x40010
	s_bfe_u32 s13, ttmp6, 0x40014
	s_add_co_i32 s11, s11, 1
	s_add_co_i32 s0, s0, s1
	s_mul_i32 s1, s12, s11
	s_bfe_u32 s11, ttmp6, 0x40004
	s_lshr_b32 s14, ttmp7, 16
	s_add_co_i32 s13, s13, 1
	s_add_co_i32 s11, s11, s1
	s_mul_i32 s1, s14, s13
	s_bfe_u32 s13, ttmp6, 0x40008
	s_getreg_b32 s15, hwreg(HW_REG_IB_STS2, 6, 4)
	s_add_co_i32 s13, s13, s1
	s_cmp_eq_u32 s15, 0
	v_mov_b32_e32 v2, v0
	s_cselect_b32 s1, s14, s13
	s_cselect_b32 s0, ttmp9, s0
	s_wait_kmcnt 0x0
	s_mul_i32 s1, s2, s1
	s_cselect_b32 s2, s12, s11
	s_add_co_i32 s0, s1, s0
	s_lshl_b32 s12, s10, 1
	s_mul_i32 s11, s0, s3
	s_mov_b32 s13, exec_lo
	s_add_co_i32 s11, s11, s2
	s_delay_alu instid0(SALU_CYCLE_1)
	s_mul_i32 s2, s11, s10
	v_cmpx_gt_i32_e64 s12, v0
	s_cbranch_execz .LBB17_13
; %bb.1:
	v_xad_u32 v1, v0, -1, s12
	s_ashr_i32 s3, s2, 31
	s_mov_b32 s0, -1
	s_mov_b32 s14, exec_lo
	s_delay_alu instid0(VALU_DEP_1)
	v_cmpx_lt_u32_e32 0x7f, v1
	s_cbranch_execz .LBB17_10
; %bb.2:
	v_lshrrev_b32_e32 v6, 7, v1
	v_or_b32_e32 v1, 0x80, v0
	s_lshl_b64 s[0:1], s[2:3], 3
	v_mov_b32_e32 v4, 0
	s_add_nc_u64 s[0:1], s[6:7], s[0:1]
	v_add_nc_u32_e32 v2, -1, v6
	s_delay_alu instid0(VALU_DEP_1) | instskip(SKIP_1) | instid1(VALU_DEP_2)
	v_lshrrev_b32_e32 v3, 1, v2
	v_cmp_lt_u32_e32 vcc_lo, 13, v2
	v_add_nc_u32_e32 v7, 1, v3
	v_mov_b64_e32 v[2:3], v[0:1]
	s_and_saveexec_b32 s15, vcc_lo
	s_cbranch_execz .LBB17_6
; %bb.3:
	v_mov_b64_e32 v[2:3], v[0:1]
	v_dual_mov_b32 v5, 0 :: v_dual_bitop2_b32 v8, -8, v7 bitop3:0x40
	v_lshl_add_u32 v9, v0, 2, 0
	s_mov_b32 s16, 0
	s_mov_b32 s17, 0
.LBB17_4:                               ; =>This Inner Loop Header: Depth=1
	s_delay_alu instid0(VALU_DEP_2) | instskip(NEXT) | instid1(VALU_DEP_4)
	v_dual_mov_b32 v4, v2 :: v_dual_mov_b32 v11, v5
	v_dual_mov_b32 v13, v5 :: v_dual_add_nc_u32 v10, 0x100, v3
	v_dual_mov_b32 v15, v5 :: v_dual_add_nc_u32 v12, 0x200, v3
	s_delay_alu instid0(VALU_DEP_3) | instskip(SKIP_1) | instid1(VALU_DEP_4)
	v_lshl_add_u64 v[24:25], v[4:5], 2, s[0:1]
	v_dual_mov_b32 v4, v3 :: v_dual_add_nc_u32 v8, -8, v8
	v_lshl_add_u64 v[10:11], v[10:11], 2, s[0:1]
	v_dual_mov_b32 v17, v5 :: v_dual_add_nc_u32 v14, 0x300, v3
	s_delay_alu instid0(VALU_DEP_3)
	v_lshl_add_u64 v[26:27], v[4:5], 2, s[0:1]
	v_add_nc_u32_e32 v4, 0x100, v2
	global_load_b32 v1, v[24:25], off
	v_lshl_add_u64 v[12:13], v[12:13], 2, s[0:1]
	v_dual_mov_b32 v19, v5 :: v_dual_add_nc_u32 v16, 0x400, v3
	global_load_b32 v28, v[26:27], off
	s_wait_xcnt 0x1
	v_lshl_add_u64 v[24:25], v[4:5], 2, s[0:1]
	v_add_nc_u32_e32 v4, 0x200, v2
	s_clause 0x1
	global_load_b32 v29, v[24:25], off
	global_load_b32 v30, v[10:11], off
	s_wait_xcnt 0x2
	v_lshl_add_u64 v[26:27], v[4:5], 2, s[0:1]
	v_add_nc_u32_e32 v4, 0x300, v2
	s_clause 0x1
	global_load_b32 v24, v[26:27], off
	global_load_b32 v25, v[12:13], off
	s_wait_xcnt 0x2
	v_lshl_add_u64 v[10:11], v[4:5], 2, s[0:1]
	v_add_nc_u32_e32 v4, 0x400, v2
	v_lshl_add_u64 v[14:15], v[14:15], 2, s[0:1]
	s_clause 0x1
	global_load_b32 v26, v[10:11], off
	global_load_b32 v27, v[14:15], off
	s_wait_xcnt 0x2
	v_lshl_add_u64 v[12:13], v[4:5], 2, s[0:1]
	v_add_nc_u32_e32 v4, 0x500, v2
	v_dual_mov_b32 v21, v5 :: v_dual_add_nc_u32 v18, 0x500, v3
	v_lshl_add_u64 v[16:17], v[16:17], 2, s[0:1]
	v_dual_mov_b32 v23, v5 :: v_dual_add_nc_u32 v20, 0x600, v3
	s_wait_xcnt 0x1
	v_lshl_add_u64 v[10:11], v[4:5], 2, s[0:1]
	v_add_nc_u32_e32 v4, 0x600, v2
	s_clause 0x1
	global_load_b32 v14, v[12:13], off
	global_load_b32 v15, v[16:17], off
	v_add_nc_u32_e32 v22, 0x700, v3
	v_lshl_add_u64 v[18:19], v[18:19], 2, s[0:1]
	v_lshl_add_u64 v[20:21], v[20:21], 2, s[0:1]
	s_wait_xcnt 0x1
	v_lshl_add_u64 v[12:13], v[4:5], 2, s[0:1]
	v_add_nc_u32_e32 v4, 0x700, v2
	s_clause 0x1
	global_load_b32 v16, v[10:11], off
	global_load_b32 v17, v[18:19], off
	v_lshl_add_u64 v[22:23], v[22:23], 2, s[0:1]
	s_add_co_i32 s17, s17, 16
	v_cmp_eq_u32_e32 vcc_lo, 0, v8
	s_wait_xcnt 0x1
	v_lshl_add_u64 v[10:11], v[4:5], 2, s[0:1]
	s_clause 0x3
	global_load_b32 v18, v[12:13], off
	global_load_b32 v19, v[20:21], off
	;; [unrolled: 1-line block ×4, first 2 shown]
	v_dual_mov_b32 v4, s17 :: v_dual_add_nc_u32 v3, 0x800, v3
	v_add_nc_u32_e32 v2, 0x800, v2
	s_or_b32 s16, vcc_lo, s16
	s_wait_loadcnt 0xe
	ds_store_2addr_stride64_b32 v9, v1, v28 offset1:2
	s_wait_loadcnt 0xc
	ds_store_2addr_stride64_b32 v9, v29, v30 offset0:4 offset1:6
	s_wait_loadcnt 0xa
	ds_store_2addr_stride64_b32 v9, v24, v25 offset0:8 offset1:10
	;; [unrolled: 2-line block ×7, first 2 shown]
	v_add_nc_u32_e32 v9, 0x2000, v9
	s_wait_xcnt 0x0
	s_and_not1_b32 exec_lo, exec_lo, s16
	s_cbranch_execnz .LBB17_4
; %bb.5:
	s_or_b32 exec_lo, exec_lo, s16
.LBB17_6:
	s_delay_alu instid0(SALU_CYCLE_1) | instskip(SKIP_3) | instid1(VALU_DEP_1)
	s_or_b32 exec_lo, exec_lo, s15
	v_and_b32_e32 v1, 7, v7
	s_mov_b32 s16, 0
	s_mov_b32 s15, exec_lo
	v_cmpx_ne_u32_e32 0, v1
	s_cbranch_execz .LBB17_9
; %bb.7:
	v_lshlrev_b32_e32 v5, 2, v0
	s_delay_alu instid0(VALU_DEP_1) | instskip(NEXT) | instid1(VALU_DEP_1)
	v_lshl_or_b32 v4, v4, 9, v5
	v_dual_mov_b32 v5, 0 :: v_dual_add_nc_u32 v7, 0, v4
.LBB17_8:                               ; =>This Inner Loop Header: Depth=1
	v_dual_mov_b32 v4, v2 :: v_dual_add_nc_u32 v1, -1, v1
	v_add_nc_u32_e32 v2, 0x100, v2
	s_delay_alu instid0(VALU_DEP_2) | instskip(SKIP_1) | instid1(VALU_DEP_4)
	v_lshl_add_u64 v[8:9], v[4:5], 2, s[0:1]
	v_dual_mov_b32 v4, v3 :: v_dual_add_nc_u32 v3, 0x100, v3
	v_cmp_eq_u32_e32 vcc_lo, 0, v1
	s_delay_alu instid0(VALU_DEP_2)
	v_lshl_add_u64 v[10:11], v[4:5], 2, s[0:1]
	s_clause 0x1
	global_load_b32 v4, v[8:9], off
	global_load_b32 v12, v[10:11], off
	s_or_b32 s16, vcc_lo, s16
	s_wait_loadcnt 0x0
	ds_store_2addr_stride64_b32 v7, v4, v12 offset1:2
	v_add_nc_u32_e32 v7, 0x400, v7
	s_and_not1_b32 exec_lo, exec_lo, s16
	s_cbranch_execnz .LBB17_8
.LBB17_9:
	s_or_b32 exec_lo, exec_lo, s15
	v_add_nc_u32_e32 v1, 1, v6
	s_delay_alu instid0(VALU_DEP_1) | instskip(NEXT) | instid1(VALU_DEP_1)
	v_and_b32_e32 v2, 0x3fffffe, v1
	v_cmp_ne_u32_e32 vcc_lo, v1, v2
	v_lshl_or_b32 v2, v2, 7, v0
	s_or_not1_b32 s0, vcc_lo, exec_lo
.LBB17_10:
	s_or_b32 exec_lo, exec_lo, s14
	s_delay_alu instid0(SALU_CYCLE_1)
	s_and_b32 exec_lo, exec_lo, s0
	s_cbranch_execz .LBB17_13
; %bb.11:
	v_mov_b32_e32 v3, 0
	s_lshl_b64 s[0:1], s[2:3], 3
	v_lshl_add_u32 v1, v2, 2, 0
	s_add_nc_u64 s[0:1], s[6:7], s[0:1]
	s_delay_alu instid0(VALU_DEP_2) | instid1(SALU_CYCLE_1)
	v_lshl_add_u64 v[4:5], v[2:3], 2, s[0:1]
	s_mov_b32 s0, 0
.LBB17_12:                              ; =>This Inner Loop Header: Depth=1
	global_load_b32 v3, v[4:5], off
	v_add_nc_u32_e32 v2, 0x80, v2
	s_wait_xcnt 0x0
	v_add_nc_u64_e32 v[4:5], 0x200, v[4:5]
	s_delay_alu instid0(VALU_DEP_2)
	v_cmp_le_i32_e32 vcc_lo, s12, v2
	s_or_b32 s0, vcc_lo, s0
	s_wait_loadcnt 0x0
	ds_store_b32 v1, v3
	v_add_nc_u32_e32 v1, 0x200, v1
	s_and_not1_b32 exec_lo, exec_lo, s0
	s_cbranch_execnz .LBB17_12
.LBB17_13:
	s_or_b32 exec_lo, exec_lo, s13
	v_mov_b32_e32 v1, 0
	s_wait_dscnt 0x0
	s_barrier_signal -1
	s_barrier_wait -1
	ds_load_b32 v1, v1
	s_cmp_lt_i32 s10, 2
	s_wait_dscnt 0x0
	v_readfirstlane_b32 s3, v1
	s_cbranch_scc1 .LBB17_21
; %bb.14:
	s_cmp_eq_u32 s10, 2
	s_cbranch_scc1 .LBB17_18
; %bb.15:
	v_dual_mov_b32 v3, s3 :: v_dual_mov_b32 v4, s3
	s_add_co_i32 s1, s10, -1
	s_add_co_i32 s7, 0, 8
	s_and_b32 s3, s1, -2
	s_mov_b32 s6, 2
.LBB17_16:                              ; =>This Inner Loop Header: Depth=1
	v_dual_mov_b32 v1, s7 :: v_dual_mov_b32 v2, v3
	s_cmp_lg_u32 s3, s6
	s_cselect_b32 s12, -1, 0
	ds_load_2addr_b32 v[6:7], v1 offset1:2
	v_dual_mov_b32 v1, v4 :: v_dual_max_num_f32 v5, v2, v2
	s_delay_alu instid0(VALU_DEP_1)
	v_max_num_f32_e32 v3, v1, v1
	s_wait_dscnt 0x0
	v_cmp_u_f32_e32 vcc_lo, v7, v7
	v_max_num_f32_e32 v7, v7, v7
	v_cndmask_b32_e64 v4, 0, 1, vcc_lo
	v_cmp_u_f32_e32 vcc_lo, v6, v6
	v_max_num_f32_e32 v6, v6, v6
	s_delay_alu instid0(VALU_DEP_3) | instskip(SKIP_1) | instid1(VALU_DEP_3)
	v_readfirstlane_b32 s0, v4
	v_cndmask_b32_e64 v8, 0, 1, vcc_lo
	v_dual_max_num_f32 v4, v3, v7 :: v_dual_max_num_f32 v3, v5, v6
	s_lshl_b32 s0, s0, 1
	s_delay_alu instid0(VALU_DEP_2) | instskip(SKIP_1) | instid1(SALU_CYCLE_1)
	v_readfirstlane_b32 s13, v8
	s_or_b32 s0, s13, s0
	s_and_b32 s13, s0, 3
	s_delay_alu instid0(SALU_CYCLE_1)
	s_cmp_lg_u32 s13, 0
	s_cselect_b32 s0, -1, 0
	s_cmp_eq_u32 s13, 0
	s_cselect_b32 s13, -1, 0
	s_add_co_i32 s6, s6, 2
	s_and_b32 s12, s13, s12
	s_add_co_i32 s7, s7, 16
	s_and_b32 vcc_lo, exec_lo, s12
	s_cbranch_vccnz .LBB17_16
; %bb.17:
	v_dual_cndmask_b32 v2, v3, v2, s0 :: v_dual_cndmask_b32 v1, v4, v1, s0
	s_add_co_i32 s6, s6, -4
	s_and_b32 s7, s0, exec_lo
	s_cselect_b32 s6, s6, s1
	s_delay_alu instid0(VALU_DEP_1) | instskip(SKIP_3) | instid1(VALU_DEP_1)
	v_dual_max_num_f32 v2, v2, v2 :: v_dual_max_num_f32 v1, v1, v1
	s_or_b32 s6, s6, 1
	s_cmp_lg_u32 s1, s3
	s_cselect_b32 s1, -1, 0
	v_readfirstlane_b32 s7, v2
	v_readfirstlane_b32 s12, v1
	s_or_b32 s0, s1, s0
	s_max_num_f32 s3, s7, s12
	s_and_b32 vcc_lo, exec_lo, s0
	s_cbranch_vccnz .LBB17_19
	s_branch .LBB17_21
.LBB17_18:
	s_mov_b32 s6, 1
	s_cbranch_execz .LBB17_21
.LBB17_19:
	s_lshl_b32 s1, s6, 3
	s_sub_co_i32 s0, s10, s6
	s_add_co_i32 s1, s1, 0
.LBB17_20:                              ; =>This Inner Loop Header: Depth=1
	s_delay_alu instid0(SALU_CYCLE_1) | instskip(NEXT) | instid1(SALU_CYCLE_1)
	v_mov_b32_e32 v1, s1
	v_max_num_f32_e64 v2, s3, s3
	s_add_co_i32 s0, s0, -1
	s_add_co_i32 s1, s1, 8
	s_cmp_eq_u32 s0, 0
	ds_load_b32 v1, v1
	v_readfirstlane_b32 s3, v2
	s_wait_dscnt 0x0
	v_max_num_f32_e32 v1, v1, v1
	s_delay_alu instid0(VALU_DEP_1)
	v_readfirstlane_b32 s6, v1
	s_max_num_f32 s3, s3, s6
	s_cbranch_scc0 .LBB17_20
.LBB17_21:
	s_cmp_lt_i32 s10, 1
	s_cbranch_scc1 .LBB17_26
; %bb.22:
	s_lshl_b32 s0, s2, 7
	s_delay_alu instid0(SALU_CYCLE_1) | instskip(NEXT) | instid1(SALU_CYCLE_1)
	s_ashr_i32 s1, s0, 31
	s_lshl_b64 s[0:1], s[0:1], 2
	s_cmp_lt_u32 s10, 8
	s_add_nc_u64 s[0:1], s[4:5], s[0:1]
	s_cbranch_scc1 .LBB17_27
; %bb.23:
	v_mov_b32_e32 v2, 0
	v_or_b32_e32 v1, 0x380, v0
	s_and_b32 s2, s10, 0x7ffffff8
	s_mov_b32 s4, 0
	s_mov_b32 s5, 0
	v_mov_b32_e32 v3, v2
.LBB17_24:                              ; =>This Inner Loop Header: Depth=1
	v_add_nc_u32_e32 v4, 0xfffffc80, v1
	v_dual_mov_b32 v16, s5 :: v_dual_add_nc_u32 v5, 0xfffffd00, v1
	s_clause 0x1
	global_load_b32 v21, v4, s[0:1] scale_offset
	global_load_b32 v23, v5, s[0:1] scale_offset
	s_wait_xcnt 0x1
	v_add_nc_u32_e32 v4, 0xfffffd80, v1
	s_wait_xcnt 0x0
	v_add_nc_u32_e32 v5, 0xfffffe00, v1
	s_clause 0x1
	global_load_b32 v25, v4, s[0:1] scale_offset
	global_load_b32 v27, v5, s[0:1] scale_offset
	s_wait_xcnt 0x1
	v_add_nc_u32_e32 v4, 0xfffffe80, v1
	s_wait_xcnt 0x0
	v_add_nc_u32_e32 v5, 0xffffff00, v1
	global_load_b32 v29, v4, s[0:1] scale_offset
	s_wait_xcnt 0x0
	v_add_nc_u32_e32 v4, 0xffffff80, v1
	s_clause 0x2
	global_load_b32 v31, v5, s[0:1] scale_offset
	global_load_b32 v33, v4, s[0:1] scale_offset
	;; [unrolled: 1-line block ×3, first 2 shown]
	s_wait_xcnt 0x1
	ds_load_2addr_b64 v[4:7], v16 offset1:1
	ds_load_2addr_b64 v[8:11], v16 offset0:2 offset1:3
	ds_load_2addr_b64 v[12:15], v16 offset0:4 offset1:5
	ds_load_2addr_b64 v[16:19], v16 offset0:6 offset1:7
	s_wait_xcnt 0x0
	v_add_nc_u32_e32 v1, 0x400, v1
	s_wait_dscnt 0x3
	v_readfirstlane_b32 s6, v4
	v_readfirstlane_b32 s7, v6
	s_wait_dscnt 0x2
	v_readfirstlane_b32 s12, v8
	v_dual_mov_b32 v20, v5 :: v_dual_mov_b32 v26, v11
	s_sub_f32 s6, s6, s3
	s_sub_f32 s7, s7, s3
	;; [unrolled: 1-line block ×3, first 2 shown]
	v_readfirstlane_b32 s13, v10
	s_mul_f32 s18, s6, 0x3fb8aa3b
	s_mul_f32 s19, s7, 0x3fb8aa3b
	;; [unrolled: 1-line block ×3, first 2 shown]
	s_wait_dscnt 0x1
	v_readfirstlane_b32 s14, v12
	s_xor_b32 s26, s18, 0x80000000
	s_rndne_f32 s27, s18
	s_fmamk_f32 s26, s6, 0x3fb8aa3b, s26
	s_cmp_nlt_f32 s6, 0xc2ce8ed0
	s_rndne_f32 s28, s19
	s_sub_f32 s18, s18, s27
	s_fmamk_f32 s26, s6, 0x32a5705f, s26
	s_cvt_i32_f32 s27, s27
	s_cselect_b32 vcc_lo, -1, 0
	s_cmp_ngt_f32 s6, 0x42b17218
	s_add_f32 s18, s18, s26
	s_sub_f32 s36, s19, s28
	s_cvt_i32_f32 s28, s28
	s_rndne_f32 s29, s20
	v_s_exp_f32 s18, s18
	s_sub_f32 s13, s13, s3
	s_sub_f32 s14, s14, s3
	;; [unrolled: 1-line block ×3, first 2 shown]
	s_cvt_i32_f32 s29, s29
	s_mul_f32 s21, s13, 0x3fb8aa3b
	s_mul_f32 s22, s14, 0x3fb8aa3b
	v_readfirstlane_b32 s15, v14
	v_ldexp_f32 v4, s18, s27
	s_wait_dscnt 0x0
	v_mov_b32_e32 v32, v17
	s_rndne_f32 s30, s21
	s_rndne_f32 s31, s22
	s_sub_f32 s15, s15, s3
	v_cndmask_b32_e32 v4, 0, v4, vcc_lo
	s_cselect_b32 vcc_lo, -1, 0
	s_xor_b32 s6, s19, 0x80000000
	s_cmp_nlt_f32 s7, 0xc2ce8ed0
	s_fmamk_f32 s6, s7, 0x3fb8aa3b, s6
	v_cndmask_b32_e32 v4, 0x7f800000, v4, vcc_lo
	s_sub_f32 s38, s21, s30
	s_cselect_b32 vcc_lo, -1, 0
	s_fmamk_f32 s6, s7, 0x32a5705f, s6
	s_cmp_ngt_f32 s7, 0x42b17218
	s_cvt_i32_f32 s30, s30
	s_sub_f32 s39, s22, s31
	s_add_f32 s6, s36, s6
	s_cvt_i32_f32 s31, s31
	s_mul_f32 s23, s15, 0x3fb8aa3b
	v_readfirstlane_b32 s16, v16
	v_s_exp_f32 s6, s6
	v_readfirstlane_b32 s17, v18
	s_rndne_f32 s33, s23
	v_mov_b32_e32 v22, v7
	s_sub_f32 s16, s16, s3
	v_mov_b32_e32 v34, v19
	s_sub_f32 s40, s23, s33
	s_cvt_i32_f32 s33, s33
	v_ldexp_f32 v5, s6, s28
	s_mul_f32 s24, s16, 0x3fb8aa3b
	s_sub_f32 s17, s17, s3
	v_dual_mov_b32 v24, v9 :: v_dual_mov_b32 v28, v13
	s_delay_alu instid0(VALU_DEP_2)
	v_dual_mov_b32 v30, v15 :: v_dual_cndmask_b32 v5, 0, v5
	s_cselect_b32 vcc_lo, -1, 0
	s_xor_b32 s6, s20, 0x80000000
	s_cmp_nlt_f32 s12, 0xc2ce8ed0
	s_fmamk_f32 s6, s12, 0x3fb8aa3b, s6
	v_cndmask_b32_e32 v6, 0x7f800000, v5, vcc_lo
	s_rndne_f32 s34, s24
	s_cselect_b32 vcc_lo, -1, 0
	s_fmamk_f32 s6, s12, 0x32a5705f, s6
	s_cmp_ngt_f32 s12, 0x42b17218
	s_sub_f32 s41, s24, s34
	s_cvt_i32_f32 s34, s34
	s_add_f32 s6, s37, s6
	s_mul_f32 s25, s17, 0x3fb8aa3b
	s_delay_alu instid0(SALU_CYCLE_2) | instskip(NEXT) | instid1(SALU_CYCLE_2)
	v_s_exp_f32 s6, s6
	s_rndne_f32 s35, s25
	s_delay_alu instid0(SALU_CYCLE_3) | instskip(SKIP_2) | instid1(TRANS32_DEP_1)
	s_sub_f32 s42, s25, s35
	s_cvt_i32_f32 s35, s35
	v_nop
	v_ldexp_f32 v5, s6, s29
	s_delay_alu instid0(VALU_DEP_1)
	v_cndmask_b32_e32 v5, 0, v5, vcc_lo
	s_cselect_b32 vcc_lo, -1, 0
	s_xor_b32 s6, s21, 0x80000000
	s_cmp_nlt_f32 s13, 0xc2ce8ed0
	s_fmamk_f32 s6, s13, 0x3fb8aa3b, s6
	v_cndmask_b32_e32 v8, 0x7f800000, v5, vcc_lo
	s_cselect_b32 vcc_lo, -1, 0
	s_delay_alu instid0(SALU_CYCLE_1) | instskip(SKIP_1) | instid1(SALU_CYCLE_2)
	s_fmamk_f32 s6, s13, 0x32a5705f, s6
	s_cmp_ngt_f32 s13, 0x42b17218
	s_add_f32 s6, s38, s6
	s_delay_alu instid0(SALU_CYCLE_3) | instskip(SKIP_1) | instid1(TRANS32_DEP_1)
	v_s_exp_f32 s6, s6
	v_nop
	v_ldexp_f32 v5, s6, s30
	s_delay_alu instid0(VALU_DEP_1)
	v_cndmask_b32_e32 v5, 0, v5, vcc_lo
	s_cselect_b32 vcc_lo, -1, 0
	s_xor_b32 s6, s22, 0x80000000
	s_cmp_nlt_f32 s14, 0xc2ce8ed0
	s_fmamk_f32 s6, s14, 0x3fb8aa3b, s6
	v_cndmask_b32_e32 v10, 0x7f800000, v5, vcc_lo
	s_cselect_b32 vcc_lo, -1, 0
	s_delay_alu instid0(SALU_CYCLE_1) | instskip(SKIP_1) | instid1(SALU_CYCLE_2)
	s_fmamk_f32 s6, s14, 0x32a5705f, s6
	s_cmp_ngt_f32 s14, 0x42b17218
	s_add_f32 s6, s39, s6
	s_delay_alu instid0(SALU_CYCLE_3) | instskip(SKIP_1) | instid1(TRANS32_DEP_1)
	v_s_exp_f32 s6, s6
	;; [unrolled: 16-line block ×4, first 2 shown]
	v_nop
	v_ldexp_f32 v5, s6, s34
	s_delay_alu instid0(VALU_DEP_1) | instskip(SKIP_4) | instid1(SALU_CYCLE_3)
	v_cndmask_b32_e32 v5, 0, v5, vcc_lo
	s_cselect_b32 vcc_lo, -1, 0
	s_xor_b32 s6, s25, 0x80000000
	s_cmp_nlt_f32 s17, 0xc2ce8ed0
	s_fmamk_f32 s6, s17, 0x3fb8aa3b, s6
	s_fmamk_f32 s6, s17, 0x32a5705f, s6
	s_delay_alu instid0(SALU_CYCLE_3) | instskip(NEXT) | instid1(SALU_CYCLE_3)
	s_add_f32 s6, s42, s6
	v_s_exp_f32 s6, s6
	s_wait_loadcnt 0x7
	v_pk_fma_f32 v[2:3], v[4:5], v[20:21], v[2:3] op_sel_hi:[0,1,1]
	v_cndmask_b32_e32 v4, 0x7f800000, v5, vcc_lo
	s_delay_alu instid0(TRANS32_DEP_1)
	v_ldexp_f32 v5, s6, s35
	s_cselect_b32 vcc_lo, -1, 0
	s_cmp_ngt_f32 s17, 0x42b17218
	s_wait_loadcnt 0x6
	v_pk_fma_f32 v[2:3], v[6:7], v[22:23], v[2:3] op_sel_hi:[0,1,1]
	v_cndmask_b32_e32 v5, 0, v5, vcc_lo
	s_cselect_b32 vcc_lo, -1, 0
	s_add_co_i32 s4, s4, 8
	s_wait_loadcnt 0x5
	v_pk_fma_f32 v[2:3], v[8:9], v[24:25], v[2:3] op_sel_hi:[0,1,1]
	s_add_co_i32 s5, s5, 64
	v_cndmask_b32_e32 v6, 0x7f800000, v5, vcc_lo
	s_cmp_eq_u32 s2, s4
	s_wait_loadcnt 0x4
	v_pk_fma_f32 v[2:3], v[10:11], v[26:27], v[2:3] op_sel_hi:[0,1,1]
	s_wait_loadcnt 0x3
	s_delay_alu instid0(VALU_DEP_1) | instskip(SKIP_1) | instid1(VALU_DEP_1)
	v_pk_fma_f32 v[2:3], v[12:13], v[28:29], v[2:3] op_sel_hi:[0,1,1]
	s_wait_loadcnt 0x2
	v_pk_fma_f32 v[2:3], v[14:15], v[30:31], v[2:3] op_sel_hi:[0,1,1]
	s_wait_loadcnt 0x1
	s_delay_alu instid0(VALU_DEP_1) | instskip(SKIP_1) | instid1(VALU_DEP_1)
	v_pk_fma_f32 v[2:3], v[4:5], v[32:33], v[2:3] op_sel_hi:[0,1,1]
	s_wait_loadcnt 0x0
	v_pk_fma_f32 v[2:3], v[6:7], v[34:35], v[2:3] op_sel_hi:[0,1,1]
	s_cbranch_scc0 .LBB17_24
; %bb.25:
	s_and_b32 s4, s10, 7
	s_delay_alu instid0(SALU_CYCLE_1)
	s_cmp_eq_u32 s4, 0
	s_cbranch_scc0 .LBB17_28
	s_branch .LBB17_30
.LBB17_26:
	v_mov_b32_e32 v1, 0x7fc00000
	s_branch .LBB17_31
.LBB17_27:
	v_mov_b64_e32 v[2:3], 0
	s_mov_b32 s2, 0
	s_and_b32 s4, s10, 7
	s_delay_alu instid0(SALU_CYCLE_1)
	s_cmp_eq_u32 s4, 0
	s_cbranch_scc1 .LBB17_30
.LBB17_28:
	v_lshl_or_b32 v1, s2, 7, v0
	s_lshl_b32 s2, s2, 3
	s_delay_alu instid0(SALU_CYCLE_1)
	s_add_co_i32 s2, s2, 0
.LBB17_29:                              ; =>This Inner Loop Header: Depth=1
	global_load_b32 v5, v1, s[0:1] scale_offset
	s_wait_xcnt 0x0
	v_dual_mov_b32 v4, s2 :: v_dual_add_nc_u32 v1, 0x80, v1
	ds_load_b64 v[6:7], v4
	s_wait_dscnt 0x0
	v_readfirstlane_b32 s5, v6
	s_sub_f32 s5, s5, s3
	s_delay_alu instid0(SALU_CYCLE_3) | instskip(NEXT) | instid1(SALU_CYCLE_3)
	s_mul_f32 s6, s5, 0x3fb8aa3b
	s_xor_b32 s7, s6, 0x80000000
	s_rndne_f32 s10, s6
	s_fmamk_f32 s7, s5, 0x3fb8aa3b, s7
	s_cmp_nlt_f32 s5, 0xc2ce8ed0
	s_delay_alu instid0(SALU_CYCLE_1) | instskip(NEXT) | instid1(SALU_CYCLE_1)
	s_sub_f32 s6, s6, s10
	s_fmamk_f32 s7, s5, 0x32a5705f, s7
	s_cselect_b32 vcc_lo, -1, 0
	s_cmp_ngt_f32 s5, 0x42b17218
	s_delay_alu instid0(SALU_CYCLE_1) | instskip(SKIP_1) | instid1(SALU_CYCLE_2)
	s_add_f32 s6, s6, s7
	s_cvt_i32_f32 s7, s10
	v_s_exp_f32 s6, s6
	v_nop
	s_delay_alu instid0(TRANS32_DEP_1) | instid1(SALU_CYCLE_1)
	v_ldexp_f32 v4, s6, s7
	s_delay_alu instid0(VALU_DEP_1) | instskip(SKIP_3) | instid1(VALU_DEP_1)
	v_dual_cndmask_b32 v6, 0, v4, vcc_lo :: v_dual_mov_b32 v4, v7
	s_cselect_b32 vcc_lo, -1, 0
	s_add_co_i32 s4, s4, -1
	s_add_co_i32 s2, s2, 8
	v_cndmask_b32_e32 v6, 0x7f800000, v6, vcc_lo
	s_cmp_lg_u32 s4, 0
	s_wait_loadcnt 0x0
	s_delay_alu instid0(VALU_DEP_1)
	v_pk_fma_f32 v[2:3], v[6:7], v[4:5], v[2:3] op_sel_hi:[0,1,1]
	s_cbranch_scc1 .LBB17_29
.LBB17_30:
	s_delay_alu instid0(VALU_DEP_1) | instskip(NEXT) | instid1(VALU_DEP_1)
	v_div_scale_f32 v1, null, v2, v2, v3
	v_rcp_f32_e32 v4, v1
	v_nop
	s_delay_alu instid0(TRANS32_DEP_1) | instskip(NEXT) | instid1(VALU_DEP_1)
	v_fma_f32 v5, -v1, v4, 1.0
	v_fmac_f32_e32 v4, v5, v4
	v_div_scale_f32 v5, vcc_lo, v3, v2, v3
	s_delay_alu instid0(VALU_DEP_1) | instskip(NEXT) | instid1(VALU_DEP_1)
	v_mul_f32_e32 v6, v5, v4
	v_fma_f32 v7, -v1, v6, v5
	s_delay_alu instid0(VALU_DEP_1) | instskip(NEXT) | instid1(VALU_DEP_1)
	v_fmac_f32_e32 v6, v7, v4
	v_fma_f32 v1, -v1, v6, v5
	s_delay_alu instid0(VALU_DEP_1) | instskip(NEXT) | instid1(VALU_DEP_1)
	v_div_fmas_f32 v1, v1, v4, v6
	v_div_fixup_f32 v1, v1, v2, v3
.LBB17_31:
	s_lshl_b32 s0, s11, 7
	s_delay_alu instid0(SALU_CYCLE_1) | instskip(NEXT) | instid1(SALU_CYCLE_1)
	s_ashr_i32 s1, s0, 31
	s_lshl_b64 s[0:1], s[0:1], 2
	s_delay_alu instid0(SALU_CYCLE_1)
	s_add_nc_u64 s[0:1], s[8:9], s[0:1]
	global_store_b32 v0, v1, s[0:1] scale_offset
	s_endpgm
	.section	.rodata,"a",@progbits
	.p2align	6, 0x0
	.amdhsa_kernel _ZL26flash_attn_combine_resultsILi128EEvPKfPK15HIP_vector_typeIfLj2EEPfi
		.amdhsa_group_segment_fixed_size 0
		.amdhsa_private_segment_fixed_size 0
		.amdhsa_kernarg_size 288
		.amdhsa_user_sgpr_count 2
		.amdhsa_user_sgpr_dispatch_ptr 0
		.amdhsa_user_sgpr_queue_ptr 0
		.amdhsa_user_sgpr_kernarg_segment_ptr 1
		.amdhsa_user_sgpr_dispatch_id 0
		.amdhsa_user_sgpr_kernarg_preload_length 0
		.amdhsa_user_sgpr_kernarg_preload_offset 0
		.amdhsa_user_sgpr_private_segment_size 0
		.amdhsa_wavefront_size32 1
		.amdhsa_uses_dynamic_stack 0
		.amdhsa_enable_private_segment 0
		.amdhsa_system_sgpr_workgroup_id_x 1
		.amdhsa_system_sgpr_workgroup_id_y 1
		.amdhsa_system_sgpr_workgroup_id_z 1
		.amdhsa_system_sgpr_workgroup_info 0
		.amdhsa_system_vgpr_workitem_id 0
		.amdhsa_next_free_vgpr 36
		.amdhsa_next_free_sgpr 43
		.amdhsa_named_barrier_count 0
		.amdhsa_reserve_vcc 1
		.amdhsa_float_round_mode_32 0
		.amdhsa_float_round_mode_16_64 0
		.amdhsa_float_denorm_mode_32 3
		.amdhsa_float_denorm_mode_16_64 3
		.amdhsa_fp16_overflow 0
		.amdhsa_memory_ordered 1
		.amdhsa_forward_progress 1
		.amdhsa_inst_pref_size 29
		.amdhsa_round_robin_scheduling 0
		.amdhsa_exception_fp_ieee_invalid_op 0
		.amdhsa_exception_fp_denorm_src 0
		.amdhsa_exception_fp_ieee_div_zero 0
		.amdhsa_exception_fp_ieee_overflow 0
		.amdhsa_exception_fp_ieee_underflow 0
		.amdhsa_exception_fp_ieee_inexact 0
		.amdhsa_exception_int_div_zero 0
	.end_amdhsa_kernel
	.section	.text._ZL26flash_attn_combine_resultsILi128EEvPKfPK15HIP_vector_typeIfLj2EEPfi,"axG",@progbits,_ZL26flash_attn_combine_resultsILi128EEvPKfPK15HIP_vector_typeIfLj2EEPfi,comdat
.Lfunc_end17:
	.size	_ZL26flash_attn_combine_resultsILi128EEvPKfPK15HIP_vector_typeIfLj2EEPfi, .Lfunc_end17-_ZL26flash_attn_combine_resultsILi128EEvPKfPK15HIP_vector_typeIfLj2EEPfi
                                        ; -- End function
	.set _ZL26flash_attn_combine_resultsILi128EEvPKfPK15HIP_vector_typeIfLj2EEPfi.num_vgpr, 36
	.set _ZL26flash_attn_combine_resultsILi128EEvPKfPK15HIP_vector_typeIfLj2EEPfi.num_agpr, 0
	.set _ZL26flash_attn_combine_resultsILi128EEvPKfPK15HIP_vector_typeIfLj2EEPfi.numbered_sgpr, 43
	.set _ZL26flash_attn_combine_resultsILi128EEvPKfPK15HIP_vector_typeIfLj2EEPfi.num_named_barrier, 0
	.set _ZL26flash_attn_combine_resultsILi128EEvPKfPK15HIP_vector_typeIfLj2EEPfi.private_seg_size, 0
	.set _ZL26flash_attn_combine_resultsILi128EEvPKfPK15HIP_vector_typeIfLj2EEPfi.uses_vcc, 1
	.set _ZL26flash_attn_combine_resultsILi128EEvPKfPK15HIP_vector_typeIfLj2EEPfi.uses_flat_scratch, 0
	.set _ZL26flash_attn_combine_resultsILi128EEvPKfPK15HIP_vector_typeIfLj2EEPfi.has_dyn_sized_stack, 0
	.set _ZL26flash_attn_combine_resultsILi128EEvPKfPK15HIP_vector_typeIfLj2EEPfi.has_recursion, 0
	.set _ZL26flash_attn_combine_resultsILi128EEvPKfPK15HIP_vector_typeIfLj2EEPfi.has_indirect_call, 0
	.section	.AMDGPU.csdata,"",@progbits
; Kernel info:
; codeLenInByte = 3596
; TotalNumSgprs: 45
; NumVgprs: 36
; ScratchSize: 0
; MemoryBound: 0
; FloatMode: 240
; IeeeMode: 1
; LDSByteSize: 0 bytes/workgroup (compile time only)
; SGPRBlocks: 0
; VGPRBlocks: 2
; NumSGPRsForWavesPerEU: 45
; NumVGPRsForWavesPerEU: 36
; NamedBarCnt: 0
; Occupancy: 16
; WaveLimiterHint : 0
; COMPUTE_PGM_RSRC2:SCRATCH_EN: 0
; COMPUTE_PGM_RSRC2:USER_SGPR: 2
; COMPUTE_PGM_RSRC2:TRAP_HANDLER: 0
; COMPUTE_PGM_RSRC2:TGID_X_EN: 1
; COMPUTE_PGM_RSRC2:TGID_Y_EN: 1
; COMPUTE_PGM_RSRC2:TGID_Z_EN: 1
; COMPUTE_PGM_RSRC2:TIDIG_COMP_CNT: 0
	.section	.text._ZL18flash_attn_ext_vecILi128ELi1EL9ggml_type1ELS0_1ELb1EEvPKcS2_S2_S2_S2_PKiPfP15HIP_vector_typeIfLj2EEffffjfiS6_IjLj3EEiiiiiiiiiiiliiliiiiil,"axG",@progbits,_ZL18flash_attn_ext_vecILi128ELi1EL9ggml_type1ELS0_1ELb1EEvPKcS2_S2_S2_S2_PKiPfP15HIP_vector_typeIfLj2EEffffjfiS6_IjLj3EEiiiiiiiiiiiliiliiiiil,comdat
	.globl	_ZL18flash_attn_ext_vecILi128ELi1EL9ggml_type1ELS0_1ELb1EEvPKcS2_S2_S2_S2_PKiPfP15HIP_vector_typeIfLj2EEffffjfiS6_IjLj3EEiiiiiiiiiiiliiliiiiil ; -- Begin function _ZL18flash_attn_ext_vecILi128ELi1EL9ggml_type1ELS0_1ELb1EEvPKcS2_S2_S2_S2_PKiPfP15HIP_vector_typeIfLj2EEffffjfiS6_IjLj3EEiiiiiiiiiiiliiliiiiil
	.p2align	8
	.type	_ZL18flash_attn_ext_vecILi128ELi1EL9ggml_type1ELS0_1ELb1EEvPKcS2_S2_S2_S2_PKiPfP15HIP_vector_typeIfLj2EEffffjfiS6_IjLj3EEiiiiiiiiiiiliiliiiiil,@function
_ZL18flash_attn_ext_vecILi128ELi1EL9ggml_type1ELS0_1ELb1EEvPKcS2_S2_S2_S2_PKiPfP15HIP_vector_typeIfLj2EEffffjfiS6_IjLj3EEiiiiiiiiiiiliiliiiiil: ; @_ZL18flash_attn_ext_vecILi128ELi1EL9ggml_type1ELS0_1ELb1EEvPKcS2_S2_S2_S2_PKiPfP15HIP_vector_typeIfLj2EEffffjfiS6_IjLj3EEiiiiiiiiiiiliiliiiiil
; %bb.0:
	s_clause 0x2
	s_load_b64 s[24:25], s[0:1], 0x64
	s_load_b64 s[28:29], s[0:1], 0x80
	;; [unrolled: 1-line block ×3, first 2 shown]
	s_bfe_u32 s6, ttmp6, 0x40014
	s_lshr_b32 s5, ttmp7, 16
	s_add_co_i32 s6, s6, 1
	s_bfe_u32 s7, ttmp6, 0x40008
	s_mul_i32 s6, s5, s6
	s_getreg_b32 s27, hwreg(HW_REG_IB_STS2, 6, 4)
	s_add_co_i32 s7, s7, s6
	s_clause 0x1
	s_load_b128 s[20:23], s[0:1], 0x40
	s_load_b64 s[30:31], s[0:1], 0x50
	v_mov_b32_e32 v49, 1.0
	s_mov_b32 s37, 0
	s_wait_kmcnt 0x0
	s_cvt_f32_u32 s4, s25
	s_sub_co_i32 s8, 0, s25
	s_delay_alu instid0(SALU_CYCLE_2) | instskip(SKIP_1) | instid1(TRANS32_DEP_1)
	v_rcp_iflag_f32_e32 v1, s4
	v_nop
	v_readfirstlane_b32 s4, v1
	s_mul_f32 s4, s4, 0x4f7ffffe
	s_delay_alu instid0(SALU_CYCLE_3) | instskip(NEXT) | instid1(SALU_CYCLE_3)
	s_cvt_u32_f32 s4, s4
	s_mul_i32 s8, s8, s4
	s_delay_alu instid0(SALU_CYCLE_1) | instskip(NEXT) | instid1(SALU_CYCLE_1)
	s_mul_hi_u32 s8, s4, s8
	s_add_co_i32 s4, s4, s8
	s_cmp_eq_u32 s27, 0
	s_cselect_b32 s5, s5, s7
	s_delay_alu instid0(SALU_CYCLE_1) | instskip(NEXT) | instid1(SALU_CYCLE_1)
	s_mul_hi_u32 s4, s5, s4
	s_mul_i32 s6, s4, s25
	s_add_co_i32 s7, s4, 1
	s_sub_co_i32 s6, s5, s6
	s_delay_alu instid0(SALU_CYCLE_1)
	s_sub_co_i32 s8, s6, s25
	s_cmp_ge_u32 s6, s25
	s_cselect_b32 s4, s7, s4
	s_cselect_b32 s6, s8, s6
	s_add_co_i32 s7, s4, 1
	s_cmp_ge_u32 s6, s25
	s_cselect_b32 s26, s7, s4
	s_abs_i32 s4, s29
	s_abs_i32 s9, s25
	s_cvt_f32_u32 s6, s4
	s_sub_co_i32 s7, 0, s4
	s_xor_b32 s8, s25, s29
	s_delay_alu instid0(SALU_CYCLE_1) | instskip(SKIP_2) | instid1(TRANS32_DEP_1)
	v_rcp_iflag_f32_e32 v1, s6
	s_ashr_i32 s8, s8, 31
	v_nop
	v_readfirstlane_b32 s6, v1
	s_mul_f32 s6, s6, 0x4f7ffffe
	s_delay_alu instid0(SALU_CYCLE_3) | instskip(NEXT) | instid1(SALU_CYCLE_3)
	s_cvt_u32_f32 s6, s6
	s_mul_i32 s7, s7, s6
	s_delay_alu instid0(SALU_CYCLE_1) | instskip(NEXT) | instid1(SALU_CYCLE_1)
	s_mul_hi_u32 s7, s6, s7
	s_add_co_i32 s6, s6, s7
	s_mul_i32 s7, s26, s25
	s_mul_hi_u32 s6, s9, s6
	s_sub_co_i32 s29, s5, s7
	s_mul_i32 s10, s6, s4
	s_add_co_i32 s7, s6, 1
	s_sub_co_i32 s5, s9, s10
	s_delay_alu instid0(SALU_CYCLE_1)
	s_sub_co_i32 s9, s5, s4
	s_cmp_ge_u32 s5, s4
	s_cselect_b32 s6, s7, s6
	s_cselect_b32 s5, s9, s5
	s_add_co_i32 s7, s6, 1
	s_cmp_ge_u32 s5, s4
	s_cselect_b32 s4, s7, s6
	s_abs_i32 s2, s2
	s_xor_b32 s4, s4, s8
	s_delay_alu instid0(SALU_CYCLE_1)
	s_sub_co_i32 s34, s4, s8
	s_cvt_f32_u32 s4, s2
	s_abs_i32 s38, s34
	s_cmp_le_f32 s21, 0
	s_cvt_f32_u32 s5, s38
	v_rcp_iflag_f32_e32 v1, s4
	s_delay_alu instid0(SALU_CYCLE_2) | instskip(NEXT) | instid1(TRANS32_DEP_2)
	v_rcp_iflag_f32_e32 v2, s5
	v_readfirstlane_b32 s21, v1
	s_delay_alu instid0(TRANS32_DEP_1)
	v_readfirstlane_b32 s35, v2
	s_cbranch_scc1 .LBB18_2
; %bb.1:
	v_sub_co_u32 v1, s4, s29, s30
	s_and_b32 s6, s4, exec_lo
	s_cselect_b32 s6, s22, s23
	s_add_co_i32 s7, s29, 1
	v_readfirstlane_b32 s5, v1
	s_lshl_b32 s5, s5, 1
	s_delay_alu instid0(SALU_CYCLE_1) | instskip(SKIP_4) | instid1(SALU_CYCLE_3)
	s_or_b32 s5, s5, 1
	s_and_b32 s4, s4, exec_lo
	s_cselect_b32 s4, s7, s5
	s_cmp_neq_f32 s6, 1.0
	s_cvt_f32_i32 s4, s4
	s_cselect_b32 s5, s4, 1.0
	s_delay_alu instid0(SALU_CYCLE_1) | instskip(SKIP_1) | instid1(SALU_CYCLE_1)
	s_cmp_neq_f32 s5, 0
	s_cselect_b32 s4, s6, 1.0
	v_cvt_f64_f32_e64 v[2:3], |s4|
	s_delay_alu instid0(VALU_DEP_1) | instskip(SKIP_1) | instid1(VALU_DEP_1)
	v_frexp_exp_i32_f64_e32 v1, v[2:3]
	v_frexp_mant_f32_e64 v2, |s4|
	v_readfirstlane_b32 s6, v2
	s_cmp_lt_f32 s6, 0x3f2aaaab
	s_cselect_b32 vcc_lo, -1, 0
	s_delay_alu instid0(SALU_CYCLE_1) | instskip(SKIP_1) | instid1(SALU_CYCLE_1)
	s_and_b32 s7, vcc_lo, exec_lo
	s_cselect_b32 s7, 2.0, 1.0
	s_mul_f32 s6, s6, s7
	s_delay_alu instid0(SALU_CYCLE_3) | instskip(SKIP_1) | instid1(SALU_CYCLE_2)
	s_add_f32 s7, s6, 1.0
	s_add_f32 s9, s6, -1.0
	v_s_rcp_f32 s8, s7
	s_add_f32 s12, s7, -1.0
	v_subrev_co_ci_u32_e64 v1, null, 0, v1, vcc_lo
	s_delay_alu instid0(SALU_CYCLE_2) | instskip(NEXT) | instid1(TRANS32_DEP_1)
	s_sub_f32 s6, s6, s12
	s_mul_f32 s10, s9, s8
	v_cvt_f32_i32_e32 v1, v1
	s_delay_alu instid0(SALU_CYCLE_2) | instskip(NEXT) | instid1(SALU_CYCLE_3)
	s_mul_f32 s11, s7, s10
	v_dual_mov_b32 v3, s9 :: v_dual_mov_b32 v4, s11
	s_xor_b32 s13, s11, 0x80000000
	s_delay_alu instid0(SALU_CYCLE_1) | instskip(NEXT) | instid1(SALU_CYCLE_3)
	s_fmac_f32 s13, s10, s7
	s_fmac_f32 s13, s10, s6
	s_delay_alu instid0(SALU_CYCLE_3) | instskip(SKIP_2) | instid1(SALU_CYCLE_1)
	s_add_f32 s6, s11, s13
	v_mov_b32_e32 v6, s13
	s_mov_b32 s11, 0x3e76c4e1
	s_sub_f32 s7, s9, s6
	v_dual_mov_b32 v2, s6 :: v_dual_mov_b32 v7, s6
	s_delay_alu instid0(SALU_CYCLE_2) | instskip(NEXT) | instid1(VALU_DEP_1)
	v_mov_b32_e32 v5, s7
	v_pk_add_f32 v[2:3], v[2:3], v[4:5] neg_lo:[0,1] neg_hi:[0,1]
	s_delay_alu instid0(VALU_DEP_1) | instskip(NEXT) | instid1(VALU_DEP_1)
	v_pk_add_f32 v[2:3], v[2:3], v[6:7] neg_lo:[0,1] neg_hi:[0,1]
	v_readfirstlane_b32 s6, v3
	s_delay_alu instid0(VALU_DEP_2) | instskip(SKIP_1) | instid1(SALU_CYCLE_3)
	v_readfirstlane_b32 s9, v2
	s_add_f32 s6, s9, s6
	s_add_f32 s6, s7, s6
	s_delay_alu instid0(SALU_CYCLE_3) | instskip(NEXT) | instid1(SALU_CYCLE_3)
	s_mul_f32 s7, s8, s6
	s_add_f32 s6, s10, s7
	s_delay_alu instid0(SALU_CYCLE_3) | instskip(SKIP_1) | instid1(SALU_CYCLE_2)
	s_sub_f32 s8, s6, s10
	s_mul_f32 s9, s6, s6
	s_sub_f32 s10, s7, s8
	s_delay_alu instid0(SALU_CYCLE_2) | instskip(NEXT) | instid1(SALU_CYCLE_1)
	s_xor_b32 s7, s9, 0x80000000
	s_fmac_f32 s7, s6, s6
	s_delay_alu instid0(SALU_CYCLE_1) | instskip(NEXT) | instid1(SALU_CYCLE_3)
	s_add_f32 s8, s10, s10
	s_fmac_f32 s7, s6, s8
	s_delay_alu instid0(SALU_CYCLE_3) | instskip(NEXT) | instid1(SALU_CYCLE_3)
	s_add_f32 s8, s9, s7
	s_fmaak_f32 s11, s8, s11, 0x3e91f4c4
	s_sub_f32 s9, s8, s9
	s_delay_alu instid0(SALU_CYCLE_2) | instskip(NEXT) | instid1(SALU_CYCLE_2)
	s_fmaak_f32 s11, s8, s11, 0x3ecccdef
	s_sub_f32 s14, s7, s9
	s_delay_alu instid0(SALU_CYCLE_2) | instskip(NEXT) | instid1(SALU_CYCLE_3)
	s_mul_f32 s12, s8, s11
	s_xor_b32 s13, s12, 0x80000000
	s_delay_alu instid0(SALU_CYCLE_1) | instskip(NEXT) | instid1(SALU_CYCLE_3)
	s_fmac_f32 s13, s8, s11
	s_fmac_f32 s13, s14, s11
	s_delay_alu instid0(SALU_CYCLE_3) | instskip(NEXT) | instid1(SALU_CYCLE_3)
	s_add_f32 s9, s12, s13
	s_sub_f32 s7, s9, s12
	s_add_f32 s11, s9, 0x3f2aaaaa
	s_delay_alu instid0(SALU_CYCLE_2) | instskip(NEXT) | instid1(SALU_CYCLE_2)
	s_sub_f32 s7, s13, s7
	s_add_f32 s12, s11, 0xbf2aaaaa
	s_delay_alu instid0(SALU_CYCLE_2) | instskip(NEXT) | instid1(SALU_CYCLE_2)
	s_add_f32 s7, s7, 0x31739010
	s_sub_f32 s9, s9, s12
	s_delay_alu instid0(SALU_CYCLE_2) | instskip(NEXT) | instid1(SALU_CYCLE_2)
	v_mov_b64_e32 v[2:3], s[6:7]
	v_mov_b64_e32 v[4:5], s[8:9]
	s_delay_alu instid0(VALU_DEP_1) | instskip(SKIP_2) | instid1(VALU_DEP_3)
	v_pk_mul_f32 v[6:7], v[2:3], v[4:5]
	v_pk_add_f32 v[2:3], v[2:3], v[4:5]
	v_mov_b32_e32 v9, s11
	v_xor_b32_e32 v8, 0x80000000, v6
	s_delay_alu instid0(VALU_DEP_3) | instskip(NEXT) | instid1(VALU_DEP_2)
	v_mov_b32_e32 v7, v3
	v_fmac_f32_e64 v8, s8, s6
	s_delay_alu instid0(VALU_DEP_1) | instskip(NEXT) | instid1(VALU_DEP_1)
	v_fmac_f32_e64 v8, s8, s10
	v_fmac_f32_e64 v8, s14, s6
	s_delay_alu instid0(VALU_DEP_1) | instskip(NEXT) | instid1(VALU_DEP_1)
	v_pk_add_f32 v[4:5], v[6:7], v[8:9]
	v_dual_mov_b32 v2, v5 :: v_dual_sub_f32 v7, s11, v5
	v_mul_f32_e32 v12, 0x3f317218, v1
	s_delay_alu instid0(VALU_DEP_2) | instskip(NEXT) | instid1(VALU_DEP_3)
	v_pk_mul_f32 v[10:11], v[4:5], v[2:3]
	v_add_f32_e32 v3, v3, v7
	s_delay_alu instid0(VALU_DEP_3) | instskip(NEXT) | instid1(VALU_DEP_3)
	v_xor_b32_e32 v7, 0x80000000, v12
	v_xor_b32_e32 v2, 0x80000000, v10
	s_delay_alu instid0(VALU_DEP_2) | instskip(NEXT) | instid1(VALU_DEP_2)
	v_dual_sub_f32 v6, v4, v6 :: v_dual_fmac_f32 v7, 0x3f317218, v1
	v_fmac_f32_e32 v2, v4, v5
	s_delay_alu instid0(VALU_DEP_2) | instskip(NEXT) | instid1(VALU_DEP_2)
	v_sub_f32_e32 v6, v8, v6
	v_fmac_f32_e32 v2, v4, v3
	s_delay_alu instid0(VALU_DEP_1) | instskip(SKIP_3) | instid1(VALU_DEP_2)
	v_fmac_f32_e32 v2, v6, v5
	v_fmamk_f32 v4, v1, 0xb102e308, v7
	v_ldexp_f32 v5, s6, 1
	v_ldexp_f32 v1, s10, 1
	v_dual_add_f32 v13, v10, v2 :: v_dual_mov_b32 v11, v5
	s_delay_alu instid0(VALU_DEP_1) | instskip(SKIP_1) | instid1(VALU_DEP_2)
	v_pk_add_f32 v[6:7], v[12:13], v[4:5]
	v_dual_mov_b32 v8, v13 :: v_dual_mov_b32 v3, v13
	v_dual_mov_b32 v9, v7 :: v_dual_mov_b32 v5, v6
	v_mov_b32_e32 v14, v7
	s_delay_alu instid0(VALU_DEP_2) | instskip(NEXT) | instid1(VALU_DEP_1)
	v_pk_add_f32 v[8:9], v[8:9], v[10:11] neg_lo:[0,1] neg_hi:[0,1]
	v_pk_add_f32 v[2:3], v[2:3], v[8:9] neg_lo:[0,1] neg_hi:[0,1]
	s_delay_alu instid0(VALU_DEP_1) | instskip(NEXT) | instid1(VALU_DEP_1)
	v_add_f32_e32 v1, v1, v2
	v_add_f32_e32 v13, v1, v3
	s_delay_alu instid0(VALU_DEP_1) | instskip(SKIP_1) | instid1(VALU_DEP_2)
	v_pk_add_f32 v[2:3], v[6:7], v[12:13]
	v_pk_add_f32 v[8:9], v[6:7], v[12:13] neg_lo:[0,1] neg_hi:[0,1]
	v_mov_b32_e32 v9, v3
	s_delay_alu instid0(VALU_DEP_1) | instskip(SKIP_2) | instid1(VALU_DEP_3)
	v_pk_add_f32 v[10:11], v[4:5], v[8:9]
	v_pk_add_f32 v[4:5], v[4:5], v[8:9] neg_lo:[0,1] neg_hi:[0,1]
	v_dual_mov_b32 v16, v3 :: v_dual_mov_b32 v5, v6
	v_dual_mov_b32 v12, v11 :: v_dual_mov_b32 v17, v11
	s_delay_alu instid0(VALU_DEP_3) | instskip(NEXT) | instid1(VALU_DEP_2)
	v_readfirstlane_b32 s6, v4
	v_pk_add_f32 v[8:9], v[12:13], v[6:7] neg_lo:[0,1] neg_hi:[0,1]
	s_delay_alu instid0(VALU_DEP_2) | instskip(NEXT) | instid1(VALU_DEP_2)
	v_dual_mov_b32 v4, v13 :: v_dual_mov_b32 v10, s6
	v_dual_mov_b32 v15, v8 :: v_dual_mov_b32 v1, v8
	s_delay_alu instid0(VALU_DEP_1) | instskip(NEXT) | instid1(VALU_DEP_2)
	v_pk_add_f32 v[6:7], v[16:17], v[14:15] neg_lo:[0,1] neg_hi:[0,1]
	v_pk_add_f32 v[2:3], v[2:3], v[0:1] neg_lo:[0,1] neg_hi:[0,1]
	v_mov_b32_e32 v2, s6
	s_delay_alu instid0(VALU_DEP_3) | instskip(NEXT) | instid1(VALU_DEP_1)
	v_pk_add_f32 v[4:5], v[4:5], v[6:7] neg_lo:[0,1] neg_hi:[0,1]
	v_pk_add_f32 v[2:3], v[2:3], v[4:5]
	s_delay_alu instid0(VALU_DEP_1) | instskip(NEXT) | instid1(VALU_DEP_2)
	v_readfirstlane_b32 s7, v2
	v_mov_b32_e32 v6, v3
	s_delay_alu instid0(VALU_DEP_1) | instskip(NEXT) | instid1(VALU_DEP_3)
	v_pk_add_f32 v[6:7], v[2:3], v[6:7]
	v_mov_b32_e32 v2, s7
	s_delay_alu instid0(VALU_DEP_2) | instskip(SKIP_1) | instid1(VALU_DEP_2)
	v_pk_add_f32 v[8:9], v[12:13], v[6:7]
	v_mov_b32_e32 v5, v6
	v_readfirstlane_b32 s8, v8
	s_delay_alu instid0(VALU_DEP_1) | instskip(NEXT) | instid1(VALU_DEP_1)
	v_mov_b32_e32 v3, s8
	v_pk_add_f32 v[2:3], v[2:3], v[10:11] neg_lo:[0,1] neg_hi:[0,1]
	s_delay_alu instid0(VALU_DEP_1) | instskip(NEXT) | instid1(VALU_DEP_2)
	v_readfirstlane_b32 s9, v2
	v_pk_add_f32 v[2:3], v[4:5], v[2:3] neg_lo:[0,1] neg_hi:[0,1]
	s_sub_f32 s7, s7, s9
	s_delay_alu instid0(VALU_DEP_1) | instskip(NEXT) | instid1(SALU_CYCLE_2)
	v_readfirstlane_b32 s9, v2
	s_sub_f32 s6, s6, s7
	v_readfirstlane_b32 s7, v3
	s_delay_alu instid0(SALU_CYCLE_2) | instskip(NEXT) | instid1(SALU_CYCLE_3)
	s_add_f32 s6, s9, s6
	s_add_f32 s6, s6, s7
	s_delay_alu instid0(SALU_CYCLE_3) | instskip(NEXT) | instid1(SALU_CYCLE_3)
	s_add_f32 s7, s8, s6
	s_mul_f32 s9, s5, s7
	s_sub_f32 s8, s7, s8
	s_delay_alu instid0(SALU_CYCLE_2) | instskip(NEXT) | instid1(SALU_CYCLE_2)
	s_xor_b32 s10, s9, 0x80000000
	s_sub_f32 s6, s6, s8
	s_fmac_f32 s10, s5, s7
	s_delay_alu instid0(SALU_CYCLE_3) | instskip(SKIP_1) | instid1(SALU_CYCLE_2)
	s_fmac_f32 s10, s5, s6
	v_cmp_class_f32_e64 s6, s9, 0x204
	s_add_f32 s7, s9, s10
	s_and_b32 s6, s6, exec_lo
	s_delay_alu instid0(SALU_CYCLE_2) | instskip(SKIP_1) | instid1(SALU_CYCLE_1)
	s_sub_f32 s6, s7, s9
	s_cselect_b32 s7, s9, s7
	s_and_b32 s8, s7, 0x7fffffff
	s_delay_alu instid0(SALU_CYCLE_1) | instskip(SKIP_1) | instid1(SALU_CYCLE_2)
	s_sub_f32 s6, s10, s6
	s_cmp_neq_f32 s8, 0x7f800000
	s_cselect_b32 s6, s6, 0
	s_cmp_eq_f32 s7, 0x42b17218
	s_cselect_b32 s8, 0x37000000, 0
	s_delay_alu instid0(SALU_CYCLE_1) | instskip(SKIP_1) | instid1(SALU_CYCLE_2)
	s_sub_f32 s7, s7, s8
	s_add_f32 s6, s8, s6
	s_mul_f32 s9, s7, 0x3fb8aa3b
	s_delay_alu instid0(SALU_CYCLE_3) | instskip(SKIP_3) | instid1(SALU_CYCLE_1)
	s_xor_b32 s10, s9, 0x80000000
	s_rndne_f32 s11, s9
	s_fmamk_f32 s10, s7, 0x3fb8aa3b, s10
	s_cmp_nlt_f32 s7, 0xc2ce8ed0
	s_sub_f32 s9, s9, s11
	s_delay_alu instid0(SALU_CYCLE_1)
	s_fmamk_f32 s10, s7, 0x32a5705f, s10
	s_cselect_b32 vcc_lo, -1, 0
	s_cmp_ngt_f32 s7, 0x42b17218
	s_trunc_f32 s7, s5
	s_add_f32 s9, s9, s10
	s_cvt_i32_f32 s10, s11
	s_delay_alu instid0(SALU_CYCLE_2)
	v_s_exp_f32 s9, s9
	v_nop
	s_delay_alu instid0(TRANS32_DEP_1) | instid1(SALU_CYCLE_1)
	v_ldexp_f32 v1, s9, s10
	s_mul_f32 s9, s5, 0.5
	s_delay_alu instid0(VALU_DEP_1) | instskip(SKIP_3) | instid1(VALU_DEP_1)
	v_cndmask_b32_e32 v1, 0, v1, vcc_lo
	s_cselect_b32 vcc_lo, -1, 0
	s_cmp_eq_f32 s7, s5
	s_trunc_f32 s10, s9
	v_cndmask_b32_e32 v1, 0x7f800000, v1, vcc_lo
	s_cselect_b32 s11, -1, 0
	s_delay_alu instid0(SALU_CYCLE_1) | instskip(NEXT) | instid1(VALU_DEP_1)
	s_cmp_neq_f32 s10, s9
	v_fma_f32 v2, s6, v1, v1
	v_cmp_class_f32_e64 vcc_lo, v1, 0x204
	s_cselect_b32 s8, -1, 0
	s_delay_alu instid0(SALU_CYCLE_1)
	s_and_b32 s6, s11, s8
	v_cndmask_b32_e32 v1, v2, v1, vcc_lo
	s_and_b32 s8, s6, exec_lo
	s_cselect_b32 s8, s4, 1.0
	s_cmp_eq_f32 s7, s5
	v_cmp_class_f32_e64 s7, s4, 0x204
	v_bfi_b32 v1, 0x7fffffff, v1, s8
	s_cselect_b32 vcc_lo, -1, 0
	s_cmp_lt_f32 s4, 0
	s_delay_alu instid0(VALU_DEP_1) | instskip(SKIP_2) | instid1(VALU_DEP_1)
	v_cndmask_b32_e32 v2, 0x7fc00000, v1, vcc_lo
	s_cselect_b32 vcc_lo, -1, 0
	s_cmp_eq_f32 s4, 0
	v_cndmask_b32_e32 v1, v1, v2, vcc_lo
	s_cselect_b32 s8, -1, 0
	s_delay_alu instid0(SALU_CYCLE_1) | instskip(SKIP_2) | instid1(SALU_CYCLE_1)
	s_or_b32 vcc_lo, s8, s7
	s_cmp_lt_f32 s5, 0
	s_cselect_b32 s5, -1, 0
	s_xor_b32 s5, s5, s8
	s_delay_alu instid0(SALU_CYCLE_1)
	s_and_b32 s5, s5, exec_lo
	s_cselect_b32 s5, 0, 0x7f800000
	s_and_b32 s6, s6, exec_lo
	s_cselect_b32 s6, s4, 0
	s_cmp_o_f32 s4, s4
	v_mov_b32_e32 v2, s6
	s_delay_alu instid0(VALU_DEP_1) | instskip(NEXT) | instid1(VALU_DEP_1)
	v_bfi_b32 v2, 0x7fffffff, s5, v2
	v_cndmask_b32_e32 v1, v1, v2, vcc_lo
	s_cselect_b32 vcc_lo, -1, 0
	s_delay_alu instid0(VALU_DEP_1)
	v_cndmask_b32_e32 v49, 0x7fc00000, v1, vcc_lo
.LBB18_2:
	s_clause 0x1
	s_load_b96 s[40:42], s[0:1], 0x70
	s_load_b512 s[4:19], s[0:1], 0x0
	s_bfe_u32 s22, ttmp6, 0x4000c
	v_and_b32_e32 v46, 0x3ff, v0
	s_add_co_i32 s22, s22, 1
	s_and_b32 s23, ttmp6, 15
	s_mul_i32 s22, ttmp9, s22
	s_delay_alu instid0(VALU_DEP_1) | instskip(SKIP_3) | instid1(VALU_DEP_1)
	v_dual_mov_b32 v50, 0 :: v_dual_lshlrev_b32 v44, 2, v46
	s_add_co_i32 s23, s23, s22
	s_cmp_eq_u32 s27, 0
	s_cselect_b32 s30, ttmp9, s23
	v_and_b32_e32 v45, 28, v44
	s_delay_alu instid0(VALU_DEP_1)
	v_lshlrev_b32_e32 v1, 3, v45
	s_wait_kmcnt 0x0
	s_mul_i32 s22, s26, s42
	s_mul_i32 s23, s40, s30
	;; [unrolled: 1-line block ×3, first 2 shown]
	s_add_co_i32 s22, s22, s23
	s_delay_alu instid0(SALU_CYCLE_1) | instskip(NEXT) | instid1(SALU_CYCLE_1)
	s_add_co_i32 s22, s22, s33
	s_ashr_i32 s23, s22, 31
	s_cmp_eq_u64 s[14:15], 0
	s_add_nc_u64 s[4:5], s[4:5], s[22:23]
	s_clause 0x3
	global_load_b128 v[6:9], v1, s[4:5] offset:16
	global_load_b128 v[14:17], v1, s[4:5]
	global_load_b128 v[2:5], v1, s[4:5] offset:272
	global_load_b128 v[10:13], v1, s[4:5] offset:256
	s_cbranch_scc1 .LBB18_4
; %bb.3:
	s_wait_xcnt 0x0
	s_load_b32 s4, s[0:1], 0xd0
	s_wait_kmcnt 0x0
	s_mul_i32 s4, s4, s26
	s_delay_alu instid0(SALU_CYCLE_1)
	s_add_co_i32 s4, s4, s30
	s_load_b32 s28, s[14:15], s4 offset:0x0 scale_offset
.LBB18_4:
	v_bfe_u32 v47, v0, 10, 10
	s_wait_xcnt 0x0
	s_bfe_u32 s5, ttmp6, 0x40010
	s_and_b32 s4, ttmp7, 0xffff
	s_add_co_i32 s5, s5, 1
	s_bfe_u32 s14, ttmp6, 0x40004
	v_lshlrev_b32_e32 v18, 5, v47
	s_mul_i32 s5, s4, s5
	v_mbcnt_lo_u32_b32 v48, -1, 0
	s_add_co_i32 s14, s14, s5
	s_cmp_eq_u32 s27, 0
	v_add_nc_u32_e32 v42, v18, v46
	s_cselect_b32 s33, s4, s14
	s_mov_b32 s15, 0
	s_lshl_b32 s42, s33, 7
	s_wait_kmcnt 0x0
	s_cmp_ge_i32 s42, s28
	v_lshlrev_b32_e32 v43, 1, v42
	s_cbranch_scc1 .LBB18_56
; %bb.5:
	s_mul_f32 s4, s35, 0x4f7ffffe
	s_mul_f32 s5, s21, 0x4f7ffffe
	s_sub_co_i32 s14, 0, s38
	s_sub_co_i32 s21, 0, s2
	s_cvt_u32_f32 s22, s4
	s_cvt_u32_f32 s5, s5
	s_cvt_f16_f32 s20, s20
	s_abs_i32 s36, s29
	s_mul_i32 s14, s14, s22
	s_mul_i32 s21, s21, s5
	s_mul_hi_u32 s14, s22, s14
	s_mul_hi_u32 s21, s5, s21
	s_add_co_i32 s22, s22, s14
	s_mov_b32 s23, s37
	s_and_b32 s20, 0xffff, s20
	s_add_co_i32 s40, s5, s21
	s_ashr_i32 s39, s34, 31
	s_mul_u64 s[44:45], s[36:37], s[22:23]
	s_mul_i32 s43, s20, 0x10001
	s_clause 0x1
	s_load_b64 s[34:35], s[0:1], 0x8c
	s_load_b128 s[20:23], s[0:1], 0x98
	s_wait_loadcnt 0x2
	v_cvt_pk_f16_f32 v0, v14, v15
	v_cvt_pk_f16_f32 v6, v6, v7
	;; [unrolled: 1-line block ×3, first 2 shown]
	s_wait_loadcnt 0x0
	v_cvt_pk_f16_f32 v8, v10, v11
	s_abs_i32 s4, s26
	v_pk_mul_f16 v71, v0, s43
	v_and_b32_e32 v0, 0x78, v46
	s_mov_b32 s5, s37
	s_mov_b32 s41, s37
	v_pk_mul_f16 v75, v8, s43
	s_mul_u64 s[40:41], s[4:5], s[40:41]
	s_mul_i32 s5, s45, s38
	v_add_nc_u32_e32 v8, v18, v0
	s_ashr_i32 s14, s29, 31
	s_sub_co_i32 s5, s36, s5
	s_ashr_i32 s27, s26, 31
	s_xor_b32 s14, s14, s39
	s_add_co_i32 s36, s45, 1
	s_sub_co_i32 s37, s5, s38
	s_cmp_ge_u32 s5, s38
	s_wait_kmcnt 0x0
	v_mul_lo_u32 v0, v8, s34
	s_cselect_b32 s36, s36, s45
	s_cselect_b32 s5, s37, s5
	s_add_co_i32 s37, s36, 1
	s_cmp_ge_u32 s5, s38
	v_cvt_pk_f16_f32 v2, v2, v3
	s_cselect_b32 s5, s37, s36
	v_cvt_pk_f16_f32 v1, v16, v17
	s_xor_b32 s5, s5, s14
	s_clause 0x1
	s_load_b64 s[38:39], s[0:1], 0xa8
	s_load_b64 s[44:45], s[0:1], 0xc8
	s_sub_co_i32 s5, s5, s14
	s_mul_i32 s14, s41, s2
	v_pk_mul_f16 v77, v2, s43
	v_add_nc_u32_e32 v2, s34, v0
	s_mul_i32 s36, s5, s35
	s_mul_i32 s40, s5, s23
	s_sub_co_i32 s4, s4, s14
	s_ashr_i32 s37, s36, 31
	s_ashr_i32 s41, s40, 31
	s_sub_co_i32 s5, s4, s2
	v_cvt_pk_f16_f32 v3, v4, v5
	v_pk_mul_f16 v72, v1, s43
	s_cmp_ge_u32 s4, s2
	v_dual_lshlrev_b32 v1, 3, v46 :: v_dual_bitop2_b32 v16, 7, v46 bitop3:0x40
	v_add_nc_u32_e32 v4, s34, v2
	s_cselect_b32 s14, s5, s4
	v_pk_mul_f16 v73, v6, s43
	s_sub_co_i32 s23, s14, s2
	s_cmp_ge_u32 s14, s2
	v_dual_lshrrev_b32 v17, 3, v46 :: v_dual_bitop2_b32 v36, 56, v1 bitop3:0x40
	v_add_nc_u32_e32 v6, s34, v4
	s_cselect_b32 s2, s23, s14
	s_mul_u64 s[4:5], s[20:21], s[26:27]
	s_xor_b32 s2, s2, s27
	s_add_nc_u64 s[4:5], s[6:7], s[4:5]
	v_dual_add_nc_u32 v10, s34, v6 :: v_dual_ashrrev_i32 v5, 31, v4
	s_sub_co_i32 s6, s2, s27
	v_cvt_pk_f16_f32 v9, v12, v13
	s_ashr_i32 s7, s6, 31
	v_pk_mul_f16 v74, v7, s43
	s_wait_kmcnt 0x0
	s_mul_u64 s[6:7], s[44:45], s[6:7]
	s_mul_i32 s2, s3, s30
	v_dual_add_nc_u32 v12, s34, v10 :: v_dual_ashrrev_i32 v11, 31, v10
	v_dual_ashrrev_i32 v7, 31, v6 :: v_dual_add_nc_u32 v21, v18, v17
	s_mul_u64 s[20:21], s[38:39], s[26:27]
	s_add_nc_u64 s[6:7], s[10:11], s[6:7]
	s_ashr_i32 s3, s2, 31
	s_add_nc_u64 s[8:9], s[8:9], s[20:21]
	s_add_nc_u64 s[2:3], s[6:7], s[2:3]
	s_lshl_b32 s14, s42, 1
	v_pk_mul_f16 v78, v3, s43
	v_dual_ashrrev_i32 v3, 31, v2 :: v_dual_add_nc_u32 v14, s34, v12
	v_or_b32_e32 v19, v18, v17
	v_dual_add_nc_u32 v17, 4, v21 :: v_dual_add_nc_u32 v22, 8, v21
	s_add_nc_u64 s[6:7], s[8:9], s[40:41]
	s_add_nc_u64 s[20:21], s[2:3], s[14:15]
	s_mul_i32 s14, s22, s42
	s_add_nc_u64 s[4:5], s[4:5], s[36:37]
	s_add_nc_u64 s[36:37], s[6:7], s[14:15]
	s_mul_i32 s14, s34, s42
	v_cmp_eq_u32_e64 s2, 7, v16
	s_add_nc_u64 s[38:39], s[4:5], s[14:15]
	v_cmp_eq_u32_e64 s3, 0, v16
	v_cmp_eq_u32_e64 s4, 1, v16
	;; [unrolled: 1-line block ×7, first 2 shown]
	v_add_nc_u32_e32 v16, s34, v14
	v_mul_lo_u32 v20, v17, s22
	v_dual_add_nc_u32 v17, 12, v21 :: v_dual_bitop2_b32 v23, 16, v19 bitop3:0x54
	v_dual_add_nc_u32 v25, 20, v21 :: v_dual_add_nc_u32 v27, 24, v21
	v_add_nc_u32_e32 v29, 28, v21
	v_mul_lo_u32 v18, v19, s22
	v_mul_lo_u32 v22, v22, s22
	;; [unrolled: 1-line block ×6, first 2 shown]
	v_ashrrev_i32_e32 v17, 31, v16
	v_mul_lo_u32 v32, v29, s22
	v_pk_mul_f16 v76, v9, s43
	v_dual_ashrrev_i32 v1, 31, v0 :: v_dual_mov_b32 v9, 0
	v_dual_ashrrev_i32 v13, 31, v12 :: v_dual_ashrrev_i32 v15, 31, v14
	v_dual_lshlrev_b32 v59, 1, v19 :: v_dual_ashrrev_i32 v19, 31, v18
	v_dual_lshlrev_b32 v60, 1, v21 :: v_dual_ashrrev_i32 v21, 31, v20
	v_dual_ashrrev_i32 v23, 31, v22 :: v_dual_ashrrev_i32 v25, 31, v24
	v_dual_ashrrev_i32 v27, 31, v26 :: v_dual_ashrrev_i32 v29, 31, v28
	;; [unrolled: 1-line block ×3, first 2 shown]
	v_dual_mov_b32 v62, 0xfeffffff :: v_dual_mov_b32 v51, 0
	v_dual_lshlrev_b32 v34, 1, v8 :: v_dual_mov_b32 v54, 0
	v_dual_mov_b32 v53, 0 :: v_dual_lshlrev_b32 v36, 1, v36
	v_dual_mov_b32 v52, 0 :: v_dual_mov_b32 v56, 0
	v_dual_mov_b32 v55, 0 :: v_dual_mov_b32 v58, 0
	;; [unrolled: 1-line block ×3, first 2 shown]
	s_cmp_lg_u64 s[10:11], 0
	s_add_nc_u64 s[10:11], s[0:1], 0xd0
	s_cselect_b32 s23, -1, 0
	s_mov_b32 s27, 0xbbbac73d
                                        ; implicit-def: $vgpr61
.LBB18_6:                               ; =>This Inner Loop Header: Depth=1
	v_dual_mov_b32 v63, v9 :: v_dual_lshlrev_b32 v8, 2, v45
	s_delay_alu instid0(VALU_DEP_1) | instskip(NEXT) | instid1(VALU_DEP_1)
	v_add_nc_u64_e32 v[38:39], s[38:39], v[8:9]
	v_add_nc_u64_e32 v[40:41], v[38:39], v[0:1]
	global_load_b128 v[64:67], v[40:41], off
	s_wait_loadcnt 0x0
	;;#ASMSTART
	v_dot2_f32_f16 v63, v64, v71, v63
	;;#ASMEND
	;;#ASMSTART
	v_dot2_f32_f16 v63, v65, v72, v63
	;;#ASMEND
	;;#ASMSTART
	v_dot2_f32_f16 v63, v66, v73, v63
	;;#ASMEND
	;;#ASMSTART
	v_dot2_f32_f16 v63, v67, v74, v63
	;;#ASMEND
	global_load_b128 v[64:67], v[40:41], off offset:128
	s_wait_xcnt 0x0
	v_xor_b32_e32 v41, 1, v48
	v_xor_b32_e32 v35, 4, v48
	v_and_b32_e32 v8, 24, v48
	s_wait_loadcnt 0x0
	;;#ASMSTART
	v_dot2_f32_f16 v63, v64, v75, v63
	;;#ASMEND
	;;#ASMSTART
	v_dot2_f32_f16 v63, v65, v76, v63
	;;#ASMEND
	;; [unrolled: 3-line block ×4, first 2 shown]
	v_add_nc_u32_e32 v8, 8, v8
	s_delay_alu instid0(VALU_DEP_1) | instskip(SKIP_1) | instid1(VALU_DEP_1)
	v_cmp_lt_i32_e32 vcc_lo, v35, v8
	v_cndmask_b32_e32 v35, v48, v35, vcc_lo
	v_lshlrev_b32_e32 v37, 2, v35
	ds_bpermute_b32 v35, v37, v63
	s_wait_dscnt 0x0
	v_dual_add_f32 v35, v63, v35 :: v_dual_bitop2_b32 v40, 2, v48 bitop3:0x14
	s_delay_alu instid0(VALU_DEP_1) | instskip(SKIP_2) | instid1(VALU_DEP_2)
	v_cmp_lt_i32_e32 vcc_lo, v40, v8
	v_cndmask_b32_e32 v40, v48, v40, vcc_lo
	v_cmp_lt_i32_e32 vcc_lo, v41, v8
	v_dual_cndmask_b32 v8, v48, v41 :: v_dual_lshlrev_b32 v65, 2, v40
	ds_bpermute_b32 v40, v65, v35
	s_wait_dscnt 0x0
	v_add_f32_e32 v35, v35, v40
	v_lshlrev_b32_e32 v66, 2, v8
                                        ; implicit-def: $vgpr40
	ds_bpermute_b32 v8, v66, v35
	s_wait_dscnt 0x0
	v_add_f32_e32 v8, v35, v8
	s_delay_alu instid0(VALU_DEP_1) | instskip(SKIP_1) | instid1(SALU_CYCLE_1)
	v_cmp_ngt_f32_e64 s14, 0x3f200000, |v8|
	s_and_saveexec_b32 s35, s14
	s_xor_b32 s14, exec_lo, s35
	s_cbranch_execz .LBB18_8
; %bb.7:                                ;   in Loop: Header=BB18_6 Depth=1
	v_add_f32_e64 v35, |v8|, |v8|
	s_delay_alu instid0(VALU_DEP_1) | instskip(SKIP_1) | instid1(VALU_DEP_2)
	v_mul_f32_e32 v40, 0x3fb8aa3b, v35
	v_cmp_ngt_f32_e32 vcc_lo, 0xc2ce8ed0, v35
	v_rndne_f32_e32 v41, v40
	v_fma_f32 v63, 0x3fb8aa3b, v35, -v40
	s_delay_alu instid0(VALU_DEP_1) | instskip(SKIP_1) | instid1(VALU_DEP_2)
	v_dual_sub_f32 v40, v40, v41 :: v_dual_fmac_f32 v63, 0x32a5705f, v35
	v_cvt_i32_f32_e32 v41, v41
	v_add_f32_e32 v40, v40, v63
	s_delay_alu instid0(VALU_DEP_1) | instskip(SKIP_1) | instid1(TRANS32_DEP_1)
	v_exp_f32_e32 v40, v40
	v_nop
	v_ldexp_f32 v40, v40, v41
	s_delay_alu instid0(VALU_DEP_1) | instskip(SKIP_1) | instid1(VALU_DEP_2)
	v_cndmask_b32_e32 v40, 0, v40, vcc_lo
	v_cmp_nlt_f32_e32 vcc_lo, 0x42b17218, v35
	v_cndmask_b32_e32 v35, 0x7f800000, v40, vcc_lo
	s_delay_alu instid0(VALU_DEP_1) | instskip(NEXT) | instid1(VALU_DEP_1)
	v_add_f32_e32 v35, 1.0, v35
	v_rcp_f32_e32 v35, v35
	v_nop
	s_delay_alu instid0(TRANS32_DEP_1)
	v_fma_f32 v40, v35, -2.0, 1.0
.LBB18_8:                               ;   in Loop: Header=BB18_6 Depth=1
	s_and_not1_saveexec_b32 s14, s14
	s_cbranch_execz .LBB18_10
; %bb.9:                                ;   in Loop: Header=BB18_6 Depth=1
	v_mul_f32_e32 v35, v8, v8
	s_delay_alu instid0(VALU_DEP_1) | instskip(NEXT) | instid1(VALU_DEP_1)
	v_fmaak_f32 v40, s27, v35, 0x3ca908c9
	v_fmaak_f32 v40, v35, v40, 0xbd5c1c4e
	s_delay_alu instid0(VALU_DEP_1) | instskip(NEXT) | instid1(VALU_DEP_1)
	v_fmaak_f32 v40, v35, v40, 0x3e088382
	v_fmaak_f32 v40, v35, v40, 0xbeaaaa99
	s_delay_alu instid0(VALU_DEP_1) | instskip(NEXT) | instid1(VALU_DEP_1)
	v_mul_f32_e64 v40, |v8|, v40
	v_fma_f32 v40, v35, v40, |v8|
.LBB18_10:                              ;   in Loop: Header=BB18_6 Depth=1
	s_or_b32 exec_lo, exec_lo, s14
	s_delay_alu instid0(VALU_DEP_1) | instskip(SKIP_2) | instid1(VALU_DEP_2)
	v_bfi_b32 v8, 0x7fffffff, v40, v8
	v_mov_b32_e32 v35, v9
	s_and_not1_b32 vcc_lo, exec_lo, s23
	v_mul_f32_e32 v8, s31, v8
	s_delay_alu instid0(VALU_DEP_2)
	v_add_nc_u64_e32 v[40:41], s[20:21], v[34:35]
	s_cbranch_vccnz .LBB18_12
; %bb.11:                               ;   in Loop: Header=BB18_6 Depth=1
	global_load_u16 v35, v[40:41], off
	s_wait_loadcnt 0x0
	v_fma_mix_f32 v8, v49, v35, v8 op_sel_hi:[0,1,0]
.LBB18_12:                              ;   in Loop: Header=BB18_6 Depth=1
	v_add_nc_u64_e32 v[68:69], v[38:39], v[2:3]
	v_mov_b32_e32 v63, v9
	global_load_b128 v[80:83], v[68:69], off
	s_wait_loadcnt 0x0
	;;#ASMSTART
	v_dot2_f32_f16 v63, v80, v71, v63
	;;#ASMEND
	;;#ASMSTART
	v_dot2_f32_f16 v63, v81, v72, v63
	;;#ASMEND
	;; [unrolled: 3-line block ×4, first 2 shown]
	global_load_b128 v[80:83], v[68:69], off offset:128
	s_wait_loadcnt 0x0
	;;#ASMSTART
	v_dot2_f32_f16 v63, v80, v75, v63
	;;#ASMEND
	;;#ASMSTART
	v_dot2_f32_f16 v63, v81, v76, v63
	;;#ASMEND
	;; [unrolled: 3-line block ×4, first 2 shown]
	ds_bpermute_b32 v35, v37, v63
	s_wait_dscnt 0x0
	v_add_f32_e32 v35, v63, v35
	ds_bpermute_b32 v63, v65, v35
	s_wait_dscnt 0x0
	v_add_f32_e32 v35, v35, v63
	;; [unrolled: 3-line block ×3, first 2 shown]
                                        ; implicit-def: $vgpr63
	s_delay_alu instid0(VALU_DEP_1) | instskip(SKIP_1) | instid1(SALU_CYCLE_1)
	v_cmp_ngt_f32_e64 s14, 0x3f200000, |v35|
	s_and_saveexec_b32 s35, s14
	s_xor_b32 s14, exec_lo, s35
	s_cbranch_execz .LBB18_14
; %bb.13:                               ;   in Loop: Header=BB18_6 Depth=1
	v_add_f32_e64 v63, |v35|, |v35|
	s_delay_alu instid0(VALU_DEP_1) | instskip(SKIP_1) | instid1(VALU_DEP_2)
	v_mul_f32_e32 v64, 0x3fb8aa3b, v63
	v_cmp_ngt_f32_e32 vcc_lo, 0xc2ce8ed0, v63
	v_rndne_f32_e32 v67, v64
	v_fma_f32 v68, 0x3fb8aa3b, v63, -v64
	s_delay_alu instid0(VALU_DEP_2) | instskip(NEXT) | instid1(VALU_DEP_2)
	v_sub_f32_e32 v64, v64, v67
	v_fmac_f32_e32 v68, 0x32a5705f, v63
	v_cvt_i32_f32_e32 v67, v67
	s_delay_alu instid0(VALU_DEP_2) | instskip(NEXT) | instid1(VALU_DEP_1)
	v_add_f32_e32 v64, v64, v68
	v_exp_f32_e32 v64, v64
	v_nop
	s_delay_alu instid0(TRANS32_DEP_1) | instskip(NEXT) | instid1(VALU_DEP_1)
	v_ldexp_f32 v64, v64, v67
	v_cndmask_b32_e32 v64, 0, v64, vcc_lo
	v_cmp_nlt_f32_e32 vcc_lo, 0x42b17218, v63
	s_delay_alu instid0(VALU_DEP_2) | instskip(NEXT) | instid1(VALU_DEP_1)
	v_cndmask_b32_e32 v63, 0x7f800000, v64, vcc_lo
	v_add_f32_e32 v63, 1.0, v63
	s_delay_alu instid0(VALU_DEP_1) | instskip(SKIP_1) | instid1(TRANS32_DEP_1)
	v_rcp_f32_e32 v63, v63
	v_nop
	v_fma_f32 v63, v63, -2.0, 1.0
.LBB18_14:                              ;   in Loop: Header=BB18_6 Depth=1
	s_and_not1_saveexec_b32 s14, s14
	s_cbranch_execz .LBB18_16
; %bb.15:                               ;   in Loop: Header=BB18_6 Depth=1
	v_mul_f32_e32 v63, v35, v35
	s_delay_alu instid0(VALU_DEP_1) | instskip(NEXT) | instid1(VALU_DEP_1)
	v_fmaak_f32 v64, s27, v63, 0x3ca908c9
	v_fmaak_f32 v64, v63, v64, 0xbd5c1c4e
	s_delay_alu instid0(VALU_DEP_1) | instskip(NEXT) | instid1(VALU_DEP_1)
	v_fmaak_f32 v64, v63, v64, 0x3e088382
	v_fmaak_f32 v64, v63, v64, 0xbeaaaa99
	s_delay_alu instid0(VALU_DEP_1) | instskip(NEXT) | instid1(VALU_DEP_1)
	v_mul_f32_e64 v64, |v35|, v64
	v_fma_f32 v63, v63, v64, |v35|
.LBB18_16:                              ;   in Loop: Header=BB18_6 Depth=1
	s_or_b32 exec_lo, exec_lo, s14
	s_delay_alu instid0(VALU_DEP_1) | instskip(SKIP_1) | instid1(VALU_DEP_1)
	v_bfi_b32 v35, 0x7fffffff, v63, v35
	s_and_not1_b32 vcc_lo, exec_lo, s23
	v_mul_f32_e32 v35, s31, v35
	s_cbranch_vccnz .LBB18_18
; %bb.17:                               ;   in Loop: Header=BB18_6 Depth=1
	global_load_u16 v63, v[40:41], off offset:2
	s_wait_loadcnt 0x0
	v_fma_mix_f32 v35, v49, v63, v35 op_sel_hi:[0,1,0]
.LBB18_18:                              ;   in Loop: Header=BB18_6 Depth=1
	v_add_nc_u64_e32 v[68:69], v[38:39], v[4:5]
	v_mov_b32_e32 v64, v9
	global_load_b128 v[80:83], v[68:69], off
	s_wait_loadcnt 0x0
	;;#ASMSTART
	v_dot2_f32_f16 v64, v80, v71, v64
	;;#ASMEND
	;;#ASMSTART
	v_dot2_f32_f16 v64, v81, v72, v64
	;;#ASMEND
	;;#ASMSTART
	v_dot2_f32_f16 v64, v82, v73, v64
	;;#ASMEND
	;;#ASMSTART
	v_dot2_f32_f16 v64, v83, v74, v64
	;;#ASMEND
	global_load_b128 v[80:83], v[68:69], off offset:128
	s_wait_loadcnt 0x0
	;;#ASMSTART
	v_dot2_f32_f16 v64, v80, v75, v64
	;;#ASMEND
	;;#ASMSTART
	v_dot2_f32_f16 v64, v81, v76, v64
	;;#ASMEND
	;; [unrolled: 3-line block ×4, first 2 shown]
	ds_bpermute_b32 v63, v37, v64
	s_wait_dscnt 0x0
	v_add_f32_e32 v63, v64, v63
	ds_bpermute_b32 v64, v65, v63
	s_wait_dscnt 0x0
	v_add_f32_e32 v63, v63, v64
	;; [unrolled: 3-line block ×3, first 2 shown]
                                        ; implicit-def: $vgpr64
	s_delay_alu instid0(VALU_DEP_1) | instskip(SKIP_1) | instid1(SALU_CYCLE_1)
	v_cmp_ngt_f32_e64 s14, 0x3f200000, |v63|
	s_and_saveexec_b32 s35, s14
	s_xor_b32 s14, exec_lo, s35
	s_cbranch_execz .LBB18_20
; %bb.19:                               ;   in Loop: Header=BB18_6 Depth=1
	v_add_f32_e64 v64, |v63|, |v63|
	s_delay_alu instid0(VALU_DEP_1) | instskip(SKIP_1) | instid1(VALU_DEP_2)
	v_mul_f32_e32 v67, 0x3fb8aa3b, v64
	v_cmp_ngt_f32_e32 vcc_lo, 0xc2ce8ed0, v64
	v_rndne_f32_e32 v68, v67
	v_fma_f32 v69, 0x3fb8aa3b, v64, -v67
	s_delay_alu instid0(VALU_DEP_2) | instskip(NEXT) | instid1(VALU_DEP_2)
	v_sub_f32_e32 v67, v67, v68
	v_fmac_f32_e32 v69, 0x32a5705f, v64
	v_cvt_i32_f32_e32 v68, v68
	s_delay_alu instid0(VALU_DEP_2) | instskip(NEXT) | instid1(VALU_DEP_1)
	v_add_f32_e32 v67, v67, v69
	v_exp_f32_e32 v67, v67
	v_nop
	s_delay_alu instid0(TRANS32_DEP_1) | instskip(NEXT) | instid1(VALU_DEP_1)
	v_ldexp_f32 v67, v67, v68
	v_cndmask_b32_e32 v67, 0, v67, vcc_lo
	v_cmp_nlt_f32_e32 vcc_lo, 0x42b17218, v64
	s_delay_alu instid0(VALU_DEP_2) | instskip(NEXT) | instid1(VALU_DEP_1)
	v_cndmask_b32_e32 v64, 0x7f800000, v67, vcc_lo
	v_add_f32_e32 v64, 1.0, v64
	s_delay_alu instid0(VALU_DEP_1) | instskip(SKIP_1) | instid1(TRANS32_DEP_1)
	v_rcp_f32_e32 v64, v64
	v_nop
	v_fma_f32 v64, v64, -2.0, 1.0
.LBB18_20:                              ;   in Loop: Header=BB18_6 Depth=1
	s_and_not1_saveexec_b32 s14, s14
	s_cbranch_execz .LBB18_22
; %bb.21:                               ;   in Loop: Header=BB18_6 Depth=1
	v_mul_f32_e32 v64, v63, v63
	s_delay_alu instid0(VALU_DEP_1) | instskip(NEXT) | instid1(VALU_DEP_1)
	v_fmaak_f32 v67, s27, v64, 0x3ca908c9
	v_fmaak_f32 v67, v64, v67, 0xbd5c1c4e
	s_delay_alu instid0(VALU_DEP_1) | instskip(NEXT) | instid1(VALU_DEP_1)
	v_fmaak_f32 v67, v64, v67, 0x3e088382
	v_fmaak_f32 v67, v64, v67, 0xbeaaaa99
	s_delay_alu instid0(VALU_DEP_1) | instskip(NEXT) | instid1(VALU_DEP_1)
	v_mul_f32_e64 v67, |v63|, v67
	v_fma_f32 v64, v64, v67, |v63|
.LBB18_22:                              ;   in Loop: Header=BB18_6 Depth=1
	s_or_b32 exec_lo, exec_lo, s14
	s_delay_alu instid0(VALU_DEP_1) | instskip(SKIP_1) | instid1(VALU_DEP_1)
	v_bfi_b32 v63, 0x7fffffff, v64, v63
	s_and_not1_b32 vcc_lo, exec_lo, s23
	v_mul_f32_e32 v63, s31, v63
	s_cbranch_vccnz .LBB18_24
; %bb.23:                               ;   in Loop: Header=BB18_6 Depth=1
	global_load_u16 v64, v[40:41], off offset:4
	s_wait_loadcnt 0x0
	v_fma_mix_f32 v63, v49, v64, v63 op_sel_hi:[0,1,0]
.LBB18_24:                              ;   in Loop: Header=BB18_6 Depth=1
	v_add_nc_u64_e32 v[68:69], v[38:39], v[6:7]
	v_mov_b32_e32 v67, v9
	global_load_b128 v[80:83], v[68:69], off
	s_wait_loadcnt 0x0
	;;#ASMSTART
	v_dot2_f32_f16 v67, v80, v71, v67
	;;#ASMEND
	;;#ASMSTART
	v_dot2_f32_f16 v67, v81, v72, v67
	;;#ASMEND
	;; [unrolled: 3-line block ×4, first 2 shown]
	global_load_b128 v[80:83], v[68:69], off offset:128
	s_wait_loadcnt 0x0
	;;#ASMSTART
	v_dot2_f32_f16 v67, v80, v75, v67
	;;#ASMEND
	;;#ASMSTART
	v_dot2_f32_f16 v67, v81, v76, v67
	;;#ASMEND
	;; [unrolled: 3-line block ×4, first 2 shown]
	ds_bpermute_b32 v64, v37, v67
	s_wait_dscnt 0x0
	v_add_f32_e32 v64, v67, v64
	ds_bpermute_b32 v67, v65, v64
	s_wait_dscnt 0x0
	v_add_f32_e32 v64, v64, v67
	;; [unrolled: 3-line block ×3, first 2 shown]
                                        ; implicit-def: $vgpr67
	s_delay_alu instid0(VALU_DEP_1) | instskip(SKIP_1) | instid1(SALU_CYCLE_1)
	v_cmp_ngt_f32_e64 s14, 0x3f200000, |v64|
	s_and_saveexec_b32 s35, s14
	s_xor_b32 s14, exec_lo, s35
	s_cbranch_execz .LBB18_26
; %bb.25:                               ;   in Loop: Header=BB18_6 Depth=1
	v_add_f32_e64 v67, |v64|, |v64|
	s_delay_alu instid0(VALU_DEP_1) | instskip(SKIP_1) | instid1(VALU_DEP_2)
	v_mul_f32_e32 v68, 0x3fb8aa3b, v67
	v_cmp_ngt_f32_e32 vcc_lo, 0xc2ce8ed0, v67
	v_rndne_f32_e32 v69, v68
	v_fma_f32 v70, 0x3fb8aa3b, v67, -v68
	s_delay_alu instid0(VALU_DEP_2) | instskip(NEXT) | instid1(VALU_DEP_2)
	v_sub_f32_e32 v68, v68, v69
	v_fmac_f32_e32 v70, 0x32a5705f, v67
	v_cvt_i32_f32_e32 v69, v69
	s_delay_alu instid0(VALU_DEP_2) | instskip(NEXT) | instid1(VALU_DEP_1)
	v_add_f32_e32 v68, v68, v70
	v_exp_f32_e32 v68, v68
	v_nop
	s_delay_alu instid0(TRANS32_DEP_1) | instskip(NEXT) | instid1(VALU_DEP_1)
	v_ldexp_f32 v68, v68, v69
	v_cndmask_b32_e32 v68, 0, v68, vcc_lo
	v_cmp_nlt_f32_e32 vcc_lo, 0x42b17218, v67
	s_delay_alu instid0(VALU_DEP_2) | instskip(NEXT) | instid1(VALU_DEP_1)
	v_cndmask_b32_e32 v67, 0x7f800000, v68, vcc_lo
	v_add_f32_e32 v67, 1.0, v67
	s_delay_alu instid0(VALU_DEP_1) | instskip(SKIP_1) | instid1(TRANS32_DEP_1)
	v_rcp_f32_e32 v67, v67
	v_nop
	v_fma_f32 v67, v67, -2.0, 1.0
.LBB18_26:                              ;   in Loop: Header=BB18_6 Depth=1
	s_and_not1_saveexec_b32 s14, s14
	s_cbranch_execz .LBB18_28
; %bb.27:                               ;   in Loop: Header=BB18_6 Depth=1
	v_mul_f32_e32 v67, v64, v64
	s_delay_alu instid0(VALU_DEP_1) | instskip(NEXT) | instid1(VALU_DEP_1)
	v_fmaak_f32 v68, s27, v67, 0x3ca908c9
	v_fmaak_f32 v68, v67, v68, 0xbd5c1c4e
	s_delay_alu instid0(VALU_DEP_1) | instskip(NEXT) | instid1(VALU_DEP_1)
	v_fmaak_f32 v68, v67, v68, 0x3e088382
	v_fmaak_f32 v68, v67, v68, 0xbeaaaa99
	s_delay_alu instid0(VALU_DEP_1) | instskip(NEXT) | instid1(VALU_DEP_1)
	v_mul_f32_e64 v68, |v64|, v68
	v_fma_f32 v67, v67, v68, |v64|
.LBB18_28:                              ;   in Loop: Header=BB18_6 Depth=1
	s_or_b32 exec_lo, exec_lo, s14
	s_delay_alu instid0(VALU_DEP_1) | instskip(SKIP_1) | instid1(VALU_DEP_1)
	v_bfi_b32 v64, 0x7fffffff, v67, v64
	s_and_not1_b32 vcc_lo, exec_lo, s23
	v_mul_f32_e32 v64, s31, v64
	s_cbranch_vccnz .LBB18_30
; %bb.29:                               ;   in Loop: Header=BB18_6 Depth=1
	global_load_u16 v67, v[40:41], off offset:6
	s_wait_loadcnt 0x0
	v_fma_mix_f32 v64, v49, v67, v64 op_sel_hi:[0,1,0]
.LBB18_30:                              ;   in Loop: Header=BB18_6 Depth=1
	v_add_nc_u64_e32 v[68:69], v[38:39], v[10:11]
	v_mov_b32_e32 v70, v9
	global_load_b128 v[80:83], v[68:69], off
	s_wait_loadcnt 0x0
	;;#ASMSTART
	v_dot2_f32_f16 v70, v80, v71, v70
	;;#ASMEND
	;;#ASMSTART
	v_dot2_f32_f16 v70, v81, v72, v70
	;;#ASMEND
	;; [unrolled: 3-line block ×4, first 2 shown]
	global_load_b128 v[80:83], v[68:69], off offset:128
	s_wait_loadcnt 0x0
	;;#ASMSTART
	v_dot2_f32_f16 v70, v80, v75, v70
	;;#ASMEND
	;;#ASMSTART
	v_dot2_f32_f16 v70, v81, v76, v70
	;;#ASMEND
	;; [unrolled: 3-line block ×4, first 2 shown]
	ds_bpermute_b32 v67, v37, v70
	s_wait_dscnt 0x0
	v_add_f32_e32 v67, v70, v67
	ds_bpermute_b32 v68, v65, v67
	s_wait_dscnt 0x0
	v_add_f32_e32 v67, v67, v68
	;; [unrolled: 3-line block ×3, first 2 shown]
                                        ; implicit-def: $vgpr68
	s_delay_alu instid0(VALU_DEP_1) | instskip(SKIP_1) | instid1(SALU_CYCLE_1)
	v_cmp_ngt_f32_e64 s14, 0x3f200000, |v67|
	s_and_saveexec_b32 s35, s14
	s_xor_b32 s14, exec_lo, s35
	s_cbranch_execz .LBB18_32
; %bb.31:                               ;   in Loop: Header=BB18_6 Depth=1
	v_add_f32_e64 v68, |v67|, |v67|
	s_delay_alu instid0(VALU_DEP_1) | instskip(SKIP_1) | instid1(VALU_DEP_2)
	v_mul_f32_e32 v69, 0x3fb8aa3b, v68
	v_cmp_ngt_f32_e32 vcc_lo, 0xc2ce8ed0, v68
	v_rndne_f32_e32 v70, v69
	v_fma_f32 v79, 0x3fb8aa3b, v68, -v69
	s_delay_alu instid0(VALU_DEP_2) | instskip(NEXT) | instid1(VALU_DEP_2)
	v_sub_f32_e32 v69, v69, v70
	v_fmac_f32_e32 v79, 0x32a5705f, v68
	v_cvt_i32_f32_e32 v70, v70
	s_delay_alu instid0(VALU_DEP_2) | instskip(NEXT) | instid1(VALU_DEP_1)
	v_add_f32_e32 v69, v69, v79
	v_exp_f32_e32 v69, v69
	v_nop
	s_delay_alu instid0(TRANS32_DEP_1) | instskip(NEXT) | instid1(VALU_DEP_1)
	v_ldexp_f32 v69, v69, v70
	v_cndmask_b32_e32 v69, 0, v69, vcc_lo
	v_cmp_nlt_f32_e32 vcc_lo, 0x42b17218, v68
	s_delay_alu instid0(VALU_DEP_2) | instskip(NEXT) | instid1(VALU_DEP_1)
	v_cndmask_b32_e32 v68, 0x7f800000, v69, vcc_lo
	v_add_f32_e32 v68, 1.0, v68
	s_delay_alu instid0(VALU_DEP_1) | instskip(SKIP_1) | instid1(TRANS32_DEP_1)
	v_rcp_f32_e32 v68, v68
	v_nop
	v_fma_f32 v68, v68, -2.0, 1.0
.LBB18_32:                              ;   in Loop: Header=BB18_6 Depth=1
	s_and_not1_saveexec_b32 s14, s14
	s_cbranch_execz .LBB18_34
; %bb.33:                               ;   in Loop: Header=BB18_6 Depth=1
	v_mul_f32_e32 v68, v67, v67
	s_delay_alu instid0(VALU_DEP_1) | instskip(NEXT) | instid1(VALU_DEP_1)
	v_fmaak_f32 v69, s27, v68, 0x3ca908c9
	v_fmaak_f32 v69, v68, v69, 0xbd5c1c4e
	s_delay_alu instid0(VALU_DEP_1) | instskip(NEXT) | instid1(VALU_DEP_1)
	v_fmaak_f32 v69, v68, v69, 0x3e088382
	v_fmaak_f32 v69, v68, v69, 0xbeaaaa99
	s_delay_alu instid0(VALU_DEP_1) | instskip(NEXT) | instid1(VALU_DEP_1)
	v_mul_f32_e64 v69, |v67|, v69
	v_fma_f32 v68, v68, v69, |v67|
.LBB18_34:                              ;   in Loop: Header=BB18_6 Depth=1
	s_or_b32 exec_lo, exec_lo, s14
	s_delay_alu instid0(VALU_DEP_1) | instskip(SKIP_1) | instid1(VALU_DEP_1)
	v_bfi_b32 v67, 0x7fffffff, v68, v67
	s_and_not1_b32 vcc_lo, exec_lo, s23
	v_mul_f32_e32 v67, s31, v67
	s_cbranch_vccnz .LBB18_36
; %bb.35:                               ;   in Loop: Header=BB18_6 Depth=1
	global_load_u16 v68, v[40:41], off offset:8
	s_wait_loadcnt 0x0
	v_fma_mix_f32 v67, v49, v68, v67 op_sel_hi:[0,1,0]
.LBB18_36:                              ;   in Loop: Header=BB18_6 Depth=1
	v_add_nc_u64_e32 v[68:69], v[38:39], v[12:13]
	v_mov_b32_e32 v70, v9
	global_load_b128 v[80:83], v[68:69], off
	s_wait_loadcnt 0x0
	;;#ASMSTART
	v_dot2_f32_f16 v70, v80, v71, v70
	;;#ASMEND
	;;#ASMSTART
	v_dot2_f32_f16 v70, v81, v72, v70
	;;#ASMEND
	;; [unrolled: 3-line block ×4, first 2 shown]
	global_load_b128 v[80:83], v[68:69], off offset:128
	s_wait_loadcnt 0x0
	;;#ASMSTART
	v_dot2_f32_f16 v70, v80, v75, v70
	;;#ASMEND
	;;#ASMSTART
	v_dot2_f32_f16 v70, v81, v76, v70
	;;#ASMEND
	;; [unrolled: 3-line block ×4, first 2 shown]
	ds_bpermute_b32 v68, v37, v70
	s_wait_dscnt 0x0
	v_add_f32_e32 v68, v70, v68
	ds_bpermute_b32 v69, v65, v68
	s_wait_dscnt 0x0
	v_add_f32_e32 v68, v68, v69
	;; [unrolled: 3-line block ×3, first 2 shown]
                                        ; implicit-def: $vgpr69
	s_delay_alu instid0(VALU_DEP_1) | instskip(SKIP_1) | instid1(SALU_CYCLE_1)
	v_cmp_ngt_f32_e64 s14, 0x3f200000, |v68|
	s_and_saveexec_b32 s35, s14
	s_xor_b32 s14, exec_lo, s35
	s_cbranch_execz .LBB18_38
; %bb.37:                               ;   in Loop: Header=BB18_6 Depth=1
	v_add_f32_e64 v69, |v68|, |v68|
	s_delay_alu instid0(VALU_DEP_1) | instskip(SKIP_1) | instid1(VALU_DEP_2)
	v_mul_f32_e32 v70, 0x3fb8aa3b, v69
	v_cmp_ngt_f32_e32 vcc_lo, 0xc2ce8ed0, v69
	v_rndne_f32_e32 v79, v70
	v_fma_f32 v80, 0x3fb8aa3b, v69, -v70
	s_delay_alu instid0(VALU_DEP_2) | instskip(NEXT) | instid1(VALU_DEP_2)
	v_sub_f32_e32 v70, v70, v79
	v_fmac_f32_e32 v80, 0x32a5705f, v69
	v_cvt_i32_f32_e32 v79, v79
	s_delay_alu instid0(VALU_DEP_2) | instskip(NEXT) | instid1(VALU_DEP_1)
	v_add_f32_e32 v70, v70, v80
	v_exp_f32_e32 v70, v70
	v_nop
	s_delay_alu instid0(TRANS32_DEP_1) | instskip(NEXT) | instid1(VALU_DEP_1)
	v_ldexp_f32 v70, v70, v79
	v_cndmask_b32_e32 v70, 0, v70, vcc_lo
	v_cmp_nlt_f32_e32 vcc_lo, 0x42b17218, v69
	s_delay_alu instid0(VALU_DEP_2) | instskip(NEXT) | instid1(VALU_DEP_1)
	v_cndmask_b32_e32 v69, 0x7f800000, v70, vcc_lo
	v_add_f32_e32 v69, 1.0, v69
	s_delay_alu instid0(VALU_DEP_1) | instskip(SKIP_1) | instid1(TRANS32_DEP_1)
	v_rcp_f32_e32 v69, v69
	v_nop
	v_fma_f32 v69, v69, -2.0, 1.0
.LBB18_38:                              ;   in Loop: Header=BB18_6 Depth=1
	s_and_not1_saveexec_b32 s14, s14
	s_cbranch_execz .LBB18_40
; %bb.39:                               ;   in Loop: Header=BB18_6 Depth=1
	v_mul_f32_e32 v69, v68, v68
	s_delay_alu instid0(VALU_DEP_1) | instskip(NEXT) | instid1(VALU_DEP_1)
	v_fmaak_f32 v70, s27, v69, 0x3ca908c9
	v_fmaak_f32 v70, v69, v70, 0xbd5c1c4e
	s_delay_alu instid0(VALU_DEP_1) | instskip(NEXT) | instid1(VALU_DEP_1)
	v_fmaak_f32 v70, v69, v70, 0x3e088382
	v_fmaak_f32 v70, v69, v70, 0xbeaaaa99
	s_delay_alu instid0(VALU_DEP_1) | instskip(NEXT) | instid1(VALU_DEP_1)
	v_mul_f32_e64 v70, |v68|, v70
	v_fma_f32 v69, v69, v70, |v68|
.LBB18_40:                              ;   in Loop: Header=BB18_6 Depth=1
	s_or_b32 exec_lo, exec_lo, s14
	s_delay_alu instid0(VALU_DEP_1) | instskip(SKIP_1) | instid1(VALU_DEP_1)
	v_bfi_b32 v68, 0x7fffffff, v69, v68
	s_and_not1_b32 vcc_lo, exec_lo, s23
	v_mul_f32_e32 v68, s31, v68
	s_cbranch_vccnz .LBB18_42
; %bb.41:                               ;   in Loop: Header=BB18_6 Depth=1
	global_load_u16 v69, v[40:41], off offset:10
	s_wait_loadcnt 0x0
	v_fma_mix_f32 v68, v49, v69, v68 op_sel_hi:[0,1,0]
.LBB18_42:                              ;   in Loop: Header=BB18_6 Depth=1
	v_add_nc_u64_e32 v[84:85], v[38:39], v[14:15]
	v_mov_b32_e32 v70, v9
	global_load_b128 v[80:83], v[84:85], off
	s_wait_loadcnt 0x0
	;;#ASMSTART
	v_dot2_f32_f16 v70, v80, v71, v70
	;;#ASMEND
	;;#ASMSTART
	v_dot2_f32_f16 v70, v81, v72, v70
	;;#ASMEND
	;; [unrolled: 3-line block ×4, first 2 shown]
	global_load_b128 v[80:83], v[84:85], off offset:128
	s_wait_loadcnt 0x0
	;;#ASMSTART
	v_dot2_f32_f16 v70, v80, v75, v70
	;;#ASMEND
	;;#ASMSTART
	v_dot2_f32_f16 v70, v81, v76, v70
	;;#ASMEND
	;; [unrolled: 3-line block ×4, first 2 shown]
	ds_bpermute_b32 v69, v37, v70
	s_wait_dscnt 0x0
	v_add_f32_e32 v69, v70, v69
	ds_bpermute_b32 v70, v65, v69
	s_wait_dscnt 0x0
	v_add_f32_e32 v69, v69, v70
	;; [unrolled: 3-line block ×3, first 2 shown]
                                        ; implicit-def: $vgpr70
	s_delay_alu instid0(VALU_DEP_1) | instskip(SKIP_1) | instid1(SALU_CYCLE_1)
	v_cmp_ngt_f32_e64 s14, 0x3f200000, |v69|
	s_and_saveexec_b32 s35, s14
	s_xor_b32 s14, exec_lo, s35
	s_cbranch_execz .LBB18_44
; %bb.43:                               ;   in Loop: Header=BB18_6 Depth=1
	v_add_f32_e64 v70, |v69|, |v69|
	s_delay_alu instid0(VALU_DEP_1) | instskip(SKIP_1) | instid1(VALU_DEP_2)
	v_mul_f32_e32 v79, 0x3fb8aa3b, v70
	v_cmp_ngt_f32_e32 vcc_lo, 0xc2ce8ed0, v70
	v_rndne_f32_e32 v80, v79
	v_fma_f32 v81, 0x3fb8aa3b, v70, -v79
	s_delay_alu instid0(VALU_DEP_2) | instskip(NEXT) | instid1(VALU_DEP_2)
	v_sub_f32_e32 v79, v79, v80
	v_fmac_f32_e32 v81, 0x32a5705f, v70
	v_cvt_i32_f32_e32 v80, v80
	s_delay_alu instid0(VALU_DEP_2) | instskip(NEXT) | instid1(VALU_DEP_1)
	v_add_f32_e32 v79, v79, v81
	v_exp_f32_e32 v79, v79
	v_nop
	s_delay_alu instid0(TRANS32_DEP_1) | instskip(NEXT) | instid1(VALU_DEP_1)
	v_ldexp_f32 v79, v79, v80
	v_cndmask_b32_e32 v79, 0, v79, vcc_lo
	v_cmp_nlt_f32_e32 vcc_lo, 0x42b17218, v70
	s_delay_alu instid0(VALU_DEP_2) | instskip(NEXT) | instid1(VALU_DEP_1)
	v_cndmask_b32_e32 v70, 0x7f800000, v79, vcc_lo
	v_add_f32_e32 v70, 1.0, v70
	s_delay_alu instid0(VALU_DEP_1) | instskip(SKIP_1) | instid1(TRANS32_DEP_1)
	v_rcp_f32_e32 v70, v70
	v_nop
	v_fma_f32 v70, v70, -2.0, 1.0
.LBB18_44:                              ;   in Loop: Header=BB18_6 Depth=1
	s_and_not1_saveexec_b32 s14, s14
	s_cbranch_execz .LBB18_46
; %bb.45:                               ;   in Loop: Header=BB18_6 Depth=1
	v_mul_f32_e32 v70, v69, v69
	s_delay_alu instid0(VALU_DEP_1) | instskip(NEXT) | instid1(VALU_DEP_1)
	v_fmaak_f32 v79, s27, v70, 0x3ca908c9
	v_fmaak_f32 v79, v70, v79, 0xbd5c1c4e
	s_delay_alu instid0(VALU_DEP_1) | instskip(NEXT) | instid1(VALU_DEP_1)
	v_fmaak_f32 v79, v70, v79, 0x3e088382
	v_fmaak_f32 v79, v70, v79, 0xbeaaaa99
	s_delay_alu instid0(VALU_DEP_1) | instskip(NEXT) | instid1(VALU_DEP_1)
	v_mul_f32_e64 v79, |v69|, v79
	v_fma_f32 v70, v70, v79, |v69|
.LBB18_46:                              ;   in Loop: Header=BB18_6 Depth=1
	s_or_b32 exec_lo, exec_lo, s14
	s_delay_alu instid0(VALU_DEP_1) | instskip(SKIP_1) | instid1(VALU_DEP_1)
	v_bfi_b32 v69, 0x7fffffff, v70, v69
	s_and_not1_b32 vcc_lo, exec_lo, s23
	v_mul_f32_e32 v69, s31, v69
	s_cbranch_vccnz .LBB18_48
; %bb.47:                               ;   in Loop: Header=BB18_6 Depth=1
	global_load_u16 v70, v[40:41], off offset:12
	s_wait_loadcnt 0x0
	v_fma_mix_f32 v69, v49, v70, v69 op_sel_hi:[0,1,0]
.LBB18_48:                              ;   in Loop: Header=BB18_6 Depth=1
	v_add_nc_u64_e32 v[38:39], v[38:39], v[16:17]
	v_mov_b32_e32 v70, v9
	global_load_b128 v[80:83], v[38:39], off
	s_wait_loadcnt 0x0
	;;#ASMSTART
	v_dot2_f32_f16 v70, v80, v71, v70
	;;#ASMEND
	;;#ASMSTART
	v_dot2_f32_f16 v70, v81, v72, v70
	;;#ASMEND
	;; [unrolled: 3-line block ×4, first 2 shown]
	global_load_b128 v[80:83], v[38:39], off offset:128
	s_wait_loadcnt 0x0
	;;#ASMSTART
	v_dot2_f32_f16 v70, v80, v75, v70
	;;#ASMEND
	;;#ASMSTART
	v_dot2_f32_f16 v70, v81, v76, v70
	;;#ASMEND
	;; [unrolled: 3-line block ×4, first 2 shown]
	ds_bpermute_b32 v37, v37, v70
	s_wait_dscnt 0x0
	v_add_f32_e32 v37, v70, v37
	ds_bpermute_b32 v38, v65, v37
	s_wait_dscnt 0x0
	v_add_f32_e32 v37, v37, v38
	;; [unrolled: 3-line block ×3, first 2 shown]
                                        ; implicit-def: $vgpr38
	s_delay_alu instid0(VALU_DEP_1) | instskip(SKIP_1) | instid1(SALU_CYCLE_1)
	v_cmp_ngt_f32_e64 s14, 0x3f200000, |v37|
	s_and_saveexec_b32 s35, s14
	s_xor_b32 s14, exec_lo, s35
	s_cbranch_execz .LBB18_50
; %bb.49:                               ;   in Loop: Header=BB18_6 Depth=1
	v_add_f32_e64 v38, |v37|, |v37|
	s_delay_alu instid0(VALU_DEP_1) | instskip(SKIP_1) | instid1(VALU_DEP_2)
	v_mul_f32_e32 v39, 0x3fb8aa3b, v38
	v_cmp_ngt_f32_e32 vcc_lo, 0xc2ce8ed0, v38
	v_rndne_f32_e32 v65, v39
	v_fma_f32 v66, 0x3fb8aa3b, v38, -v39
	s_delay_alu instid0(VALU_DEP_1) | instskip(SKIP_1) | instid1(VALU_DEP_2)
	v_dual_sub_f32 v39, v39, v65 :: v_dual_fmac_f32 v66, 0x32a5705f, v38
	v_cvt_i32_f32_e32 v65, v65
	v_add_f32_e32 v39, v39, v66
	s_delay_alu instid0(VALU_DEP_1) | instskip(SKIP_1) | instid1(TRANS32_DEP_1)
	v_exp_f32_e32 v39, v39
	v_nop
	v_ldexp_f32 v39, v39, v65
	s_delay_alu instid0(VALU_DEP_1) | instskip(SKIP_1) | instid1(VALU_DEP_2)
	v_cndmask_b32_e32 v39, 0, v39, vcc_lo
	v_cmp_nlt_f32_e32 vcc_lo, 0x42b17218, v38
	v_cndmask_b32_e32 v38, 0x7f800000, v39, vcc_lo
	s_delay_alu instid0(VALU_DEP_1) | instskip(NEXT) | instid1(VALU_DEP_1)
	v_add_f32_e32 v38, 1.0, v38
	v_rcp_f32_e32 v38, v38
	v_nop
	s_delay_alu instid0(TRANS32_DEP_1)
	v_fma_f32 v38, v38, -2.0, 1.0
.LBB18_50:                              ;   in Loop: Header=BB18_6 Depth=1
	s_and_not1_saveexec_b32 s14, s14
	s_cbranch_execz .LBB18_52
; %bb.51:                               ;   in Loop: Header=BB18_6 Depth=1
	v_mul_f32_e32 v38, v37, v37
	s_delay_alu instid0(VALU_DEP_1) | instskip(NEXT) | instid1(VALU_DEP_1)
	v_fmaak_f32 v39, s27, v38, 0x3ca908c9
	v_fmaak_f32 v39, v38, v39, 0xbd5c1c4e
	s_delay_alu instid0(VALU_DEP_1) | instskip(NEXT) | instid1(VALU_DEP_1)
	v_fmaak_f32 v39, v38, v39, 0x3e088382
	v_fmaak_f32 v39, v38, v39, 0xbeaaaa99
	s_delay_alu instid0(VALU_DEP_1) | instskip(NEXT) | instid1(VALU_DEP_1)
	v_mul_f32_e64 v39, |v37|, v39
	v_fma_f32 v38, v38, v39, |v37|
.LBB18_52:                              ;   in Loop: Header=BB18_6 Depth=1
	s_or_b32 exec_lo, exec_lo, s14
	s_delay_alu instid0(VALU_DEP_1) | instskip(SKIP_1) | instid1(VALU_DEP_1)
	v_bfi_b32 v37, 0x7fffffff, v38, v37
	s_and_not1_b32 vcc_lo, exec_lo, s23
	v_mul_f32_e32 v38, s31, v37
	s_cbranch_vccnz .LBB18_54
; %bb.53:                               ;   in Loop: Header=BB18_6 Depth=1
	global_load_u16 v37, v[40:41], off offset:14
	s_wait_loadcnt 0x0
	v_fma_mix_f32 v38, v49, v37, v38 op_sel_hi:[0,1,0]
.LBB18_54:                              ;   in Loop: Header=BB18_6 Depth=1
	v_add_nc_u64_e32 v[40:41], s[36:37], v[18:19]
	v_add_nc_u64_e32 v[84:85], s[36:37], v[20:21]
	v_mov_b32_e32 v37, v9
	v_add_nc_u64_e32 v[92:93], s[36:37], v[22:23]
	v_add_nc_u64_e32 v[102:103], s[36:37], v[24:25]
	;; [unrolled: 1-line block ×9, first 2 shown]
	v_dual_add_f32 v39, 0x40051340, v35 :: v_dual_add_f32 v66, 0x40051340, v68
	s_clause 0x2
	global_load_b128 v[80:83], v[40:41], off
	global_load_b128 v[84:87], v[40:41], off offset:128
	global_load_b128 v[88:91], v[100:101], off
	s_wait_xcnt 0x1
	v_add_nc_u64_e32 v[40:41], v[92:93], v[36:37]
	v_add_nc_u64_e32 v[132:133], v[118:119], v[36:37]
	;; [unrolled: 1-line block ×3, first 2 shown]
	v_add_f32_e32 v65, 0x40051340, v67
	s_clause 0x3
	global_load_b128 v[92:95], v[100:101], off offset:128
	global_load_b128 v[96:99], v[40:41], off
	global_load_b128 v[100:103], v[40:41], off offset:128
	global_load_b128 v[104:107], v[116:117], off
	s_wait_xcnt 0x1
	v_add_nc_u64_e32 v[40:41], v[108:109], v[36:37]
	s_mov_b32 s41, s15
	s_clause 0x3
	global_load_b128 v[108:111], v[116:117], off offset:128
	global_load_b128 v[112:115], v[40:41], off
	global_load_b128 v[116:119], v[40:41], off offset:128
	global_load_b128 v[120:123], v[132:133], off
	s_wait_xcnt 0x1
	v_add_nc_u64_e32 v[40:41], v[124:125], v[36:37]
	v_add_f32_e32 v37, 0x40051340, v8
	s_clause 0x4
	global_load_b128 v[124:127], v[132:133], off offset:128
	global_load_b128 v[128:131], v[40:41], off
	global_load_b128 v[132:135], v[40:41], off offset:128
	global_load_b128 v[136:139], v[144:145], off
	global_load_b128 v[140:143], v[144:145], off offset:128
	s_wait_xcnt 0x2
	v_dual_add_f32 v40, 0x40051340, v63 :: v_dual_add_f32 v41, 0x40051340, v64
	v_max3_num_f32 v37, v62, v37, v39
	v_cndmask_b32_e64 v8, v61, v8, s3
	v_xor_b32_e32 v39, 8, v48
	s_load_b32 s14, s[10:11], 0x4
	s_delay_alu instid0(VALU_DEP_3) | instskip(SKIP_3) | instid1(VALU_DEP_4)
	v_max3_num_f32 v37, v37, v40, v41
	v_dual_add_f32 v40, 0x40051340, v69 :: v_dual_add_f32 v41, 0x40051340, v38
	v_cndmask_b32_e64 v8, v8, v35, s4
	v_cmp_gt_i32_e32 vcc_lo, 32, v39
	v_max3_num_f32 v37, v37, v65, v66
	s_delay_alu instid0(VALU_DEP_3) | instskip(SKIP_1) | instid1(VALU_DEP_3)
	v_cndmask_b32_e64 v8, v8, v63, s5
	v_cndmask_b32_e32 v39, v48, v39, vcc_lo
	v_max3_num_f32 v37, v37, v40, v41
	v_xor_b32_e32 v40, 16, v48
	s_delay_alu instid0(VALU_DEP_4) | instskip(NEXT) | instid1(VALU_DEP_2)
	v_cndmask_b32_e64 v8, v8, v64, s6
	v_cmp_gt_i32_e32 vcc_lo, 32, v40
	s_wait_kmcnt 0x0
	s_lshl_b32 s40, s14, 7
	s_delay_alu instid0(VALU_DEP_2)
	v_cndmask_b32_e64 v8, v8, v67, s7
	s_mul_i32 s14, s40, s34
	v_dual_cndmask_b32 v40, v48, v40 :: v_dual_lshlrev_b32 v39, 2, v39
	s_add_co_i32 s42, s40, s42
	s_add_nc_u64 s[38:39], s[38:39], s[14:15]
	s_mul_i32 s14, s40, s22
	s_delay_alu instid0(VALU_DEP_1)
	v_lshlrev_b32_e32 v35, 2, v40
	ds_bpermute_b32 v39, v39, v37
	s_lshl_b64 s[40:41], s[40:41], 1
	s_add_nc_u64 s[36:37], s[36:37], s[14:15]
	s_cmp_ge_i32 s42, s28
	s_add_nc_u64 s[20:21], s[20:21], s[40:41]
	s_wait_dscnt 0x0
	v_max_num_f32_e32 v39, v39, v39
	s_delay_alu instid0(VALU_DEP_1) | instskip(SKIP_3) | instid1(VALU_DEP_1)
	v_max_num_f32_e32 v37, v37, v39
	ds_bpermute_b32 v35, v35, v37
	s_wait_dscnt 0x0
	v_dual_cndmask_b32 v8, v8, v68, s8 :: v_dual_max_num_f32 v35, v35, v35
	v_cndmask_b32_e64 v8, v8, v69, s9
	s_delay_alu instid0(VALU_DEP_1) | instskip(NEXT) | instid1(VALU_DEP_1)
	v_dual_cndmask_b32 v38, v8, v38, s2 :: v_dual_max_num_f32 v8, v37, v35
	v_sub_f32_e32 v37, v62, v8
	s_delay_alu instid0(VALU_DEP_1) | instskip(NEXT) | instid1(VALU_DEP_1)
	v_mul_f32_e32 v39, 0x3fb8aa3b, v37
	v_fma_f32 v61, 0x3fb8aa3b, v37, -v39
	v_rndne_f32_e32 v62, v39
	s_delay_alu instid0(VALU_DEP_2) | instskip(NEXT) | instid1(VALU_DEP_2)
	v_fmac_f32_e32 v61, 0x32a5705f, v37
	v_dual_sub_f32 v39, v39, v62 :: v_dual_sub_f32 v35, v38, v8
	s_delay_alu instid0(VALU_DEP_1) | instskip(SKIP_1) | instid1(VALU_DEP_2)
	v_dual_add_f32 v39, v39, v61 :: v_dual_mul_f32 v38, 0x3fb8aa3b, v35
	v_cmp_ngt_f32_e32 vcc_lo, 0xc2ce8ed0, v35
	v_exp_f32_e32 v39, v39
	s_delay_alu instid0(VALU_DEP_2) | instskip(SKIP_1) | instid1(VALU_DEP_2)
	v_fma_f32 v40, 0x3fb8aa3b, v35, -v38
	v_rndne_f32_e32 v41, v38
	v_fmac_f32_e32 v40, 0x32a5705f, v35
	s_delay_alu instid0(VALU_DEP_2) | instskip(NEXT) | instid1(VALU_DEP_1)
	v_sub_f32_e32 v38, v38, v41
	v_add_f32_e32 v38, v38, v40
	v_cvt_i32_f32_e32 v40, v41
	v_cvt_i32_f32_e32 v41, v62
	s_delay_alu instid0(VALU_DEP_3) | instskip(NEXT) | instid1(VALU_DEP_1)
	v_exp_f32_e32 v38, v38
	v_ldexp_f32 v39, v39, v41
	s_delay_alu instid0(TRANS32_DEP_1) | instskip(NEXT) | instid1(VALU_DEP_1)
	v_ldexp_f32 v38, v38, v40
	v_cndmask_b32_e32 v38, 0, v38, vcc_lo
	v_cmp_ngt_f32_e32 vcc_lo, 0xc2ce8ed0, v37
	s_delay_alu instid0(VALU_DEP_4) | instskip(SKIP_1) | instid1(VALU_DEP_4)
	v_cndmask_b32_e32 v39, 0, v39, vcc_lo
	v_cmp_nlt_f32_e32 vcc_lo, 0x42b17218, v35
	v_cndmask_b32_e32 v61, 0x7f800000, v38, vcc_lo
	v_cmp_nlt_f32_e32 vcc_lo, 0x42b17218, v37
	s_delay_alu instid0(VALU_DEP_2) | instskip(SKIP_4) | instid1(VALU_DEP_2)
	v_cvt_f16_f32_e32 v37, v61
	v_cndmask_b32_e32 v35, 0x7f800000, v39, vcc_lo
	ds_store_b16 v43, v37
	v_cvt_f16_f32_e32 v38, v35
	v_fma_f32 v50, v50, v35, v61
	v_and_b32_e32 v37, 0xffff, v38
	ds_load_u16 v38, v59
	ds_load_u16 v39, v59 offset:32
	ds_load_u16 v40, v60 offset:8
	;; [unrolled: 1-line block ×7, first 2 shown]
	v_mul_u32_u24_e32 v37, 0x10001, v37
	s_delay_alu instid0(VALU_DEP_1)
	v_pk_mul_f16 v35, v57, v37
	v_pk_mul_f16 v57, v58, v37
	;; [unrolled: 1-line block ×8, first 2 shown]
	s_wait_dscnt 0x7
	v_mul_u32_u24_e32 v38, 0x10001, v38
	s_wait_dscnt 0x5
	v_mul_u32_u24_e32 v40, 0x10001, v40
	;; [unrolled: 2-line block ×4, first 2 shown]
	v_mul_u32_u24_e32 v39, 0x10001, v39
	s_wait_dscnt 0x2
	v_mul_u32_u24_e32 v58, 0x10001, v63
	s_wait_dscnt 0x1
	;; [unrolled: 2-line block ×3, first 2 shown]
	v_mul_u32_u24_e32 v63, 0x10001, v65
	s_wait_loadcnt 0xe
	v_pk_fma_f16 v52, v84, v38, v52
	v_pk_fma_f16 v35, v80, v38, v35
	;; [unrolled: 1-line block ×8, first 2 shown]
	s_wait_loadcnt 0xd
	v_pk_fma_f16 v35, v88, v40, v35
	v_pk_fma_f16 v38, v89, v40, v57
	v_pk_fma_f16 v55, v90, v40, v55
	v_pk_fma_f16 v56, v91, v40, v56
	s_wait_loadcnt 0xc
	v_pk_fma_f16 v52, v92, v40, v52
	v_pk_fma_f16 v53, v93, v40, v53
	v_pk_fma_f16 v51, v94, v40, v51
	v_pk_fma_f16 v37, v95, v40, v37
	;; [unrolled: 5-line block ×14, first 2 shown]
	s_cbranch_scc1 .LBB18_57
; %bb.55:                               ;   in Loop: Header=BB18_6 Depth=1
	v_mov_b32_e32 v62, v8
	s_branch .LBB18_6
.LBB18_56:
	s_wait_loadcnt 0x3
	v_dual_mov_b32 v57, 0 :: v_dual_mov_b32 v8, 0xfeffffff
	v_dual_mov_b32 v55, 0 :: v_dual_mov_b32 v58, 0
	;; [unrolled: 1-line block ×4, first 2 shown]
	v_mov_b32_e32 v54, 0
.LBB18_57:
	v_or_b32_e32 v0, s33, v47
	s_cmp_lg_u64 s[12:13], 0
	s_cselect_b32 s2, -1, 0
	s_delay_alu instid0(VALU_DEP_1) | instskip(SKIP_1) | instid1(SALU_CYCLE_1)
	v_cmp_eq_u32_e32 vcc_lo, 0, v0
	s_and_b32 s3, vcc_lo, s2
	s_and_saveexec_b32 s2, s3
	s_cbranch_execz .LBB18_59
; %bb.58:
	v_dual_mov_b32 v0, s29 :: v_dual_max_num_f32 v1, v8, v8
	global_load_b32 v0, v0, s[12:13] scale_offset
	s_wait_loadcnt 0x0
	v_max_num_f32_e32 v2, v0, v0
	s_delay_alu instid0(VALU_DEP_1) | instskip(NEXT) | instid1(VALU_DEP_1)
	v_max_num_f32_e32 v1, v1, v2
	v_sub_f32_e32 v0, v0, v1
	s_delay_alu instid0(VALU_DEP_1) | instskip(SKIP_1) | instid1(VALU_DEP_2)
	v_mul_f32_e32 v4, 0x3fb8aa3b, v0
	v_sub_f32_e32 v2, v8, v1
	v_rndne_f32_e32 v8, v4
	s_delay_alu instid0(VALU_DEP_2) | instskip(SKIP_1) | instid1(VALU_DEP_3)
	v_mul_f32_e32 v3, 0x3fb8aa3b, v2
	v_fma_f32 v7, 0x3fb8aa3b, v0, -v4
	v_sub_f32_e32 v4, v4, v8
	s_delay_alu instid0(VALU_DEP_3) | instskip(SKIP_1) | instid1(VALU_DEP_4)
	v_fma_f32 v5, 0x3fb8aa3b, v2, -v3
	v_rndne_f32_e32 v6, v3
	v_fmac_f32_e32 v7, 0x32a5705f, v0
	s_delay_alu instid0(VALU_DEP_2) | instskip(NEXT) | instid1(VALU_DEP_2)
	v_sub_f32_e32 v3, v3, v6
	v_dual_fmac_f32 v5, 0x32a5705f, v2 :: v_dual_add_f32 v4, v4, v7
	v_cmp_ngt_f32_e32 vcc_lo, 0xc2ce8ed0, v2
	s_delay_alu instid0(VALU_DEP_2) | instskip(SKIP_1) | instid1(VALU_DEP_4)
	v_add_f32_e32 v3, v3, v5
	v_cvt_i32_f32_e32 v5, v6
	v_exp_f32_e32 v4, v4
	v_cvt_i32_f32_e32 v6, v8
	v_mov_b32_e32 v8, v1
	v_exp_f32_e32 v3, v3
	s_delay_alu instid0(TRANS32_DEP_2) | instid1(VALU_DEP_2)
	v_ldexp_f32 v4, v4, v6
	s_delay_alu instid0(TRANS32_DEP_1) | instskip(NEXT) | instid1(VALU_DEP_1)
	v_ldexp_f32 v3, v3, v5
	v_cndmask_b32_e32 v3, 0, v3, vcc_lo
	v_cmp_ngt_f32_e32 vcc_lo, 0xc2ce8ed0, v0
	s_delay_alu instid0(VALU_DEP_4) | instskip(SKIP_1) | instid1(VALU_DEP_4)
	v_cndmask_b32_e32 v4, 0, v4, vcc_lo
	v_cmp_nlt_f32_e32 vcc_lo, 0x42b17218, v2
	v_cndmask_b32_e32 v2, 0x7f800000, v3, vcc_lo
	v_cmp_nlt_f32_e32 vcc_lo, 0x42b17218, v0
	s_delay_alu instid0(VALU_DEP_2) | instskip(SKIP_2) | instid1(VALU_DEP_3)
	v_cvt_f16_f32_e32 v3, v2
	v_cndmask_b32_e32 v0, 0x7f800000, v4, vcc_lo
	v_cmp_eq_u32_e32 vcc_lo, 0, v46
	v_and_b32_e32 v3, 0xffff, v3
	s_delay_alu instid0(VALU_DEP_3) | instskip(NEXT) | instid1(VALU_DEP_1)
	v_cndmask_b32_e32 v0, 0, v0, vcc_lo
	v_fmac_f32_e32 v0, v50, v2
	s_delay_alu instid0(VALU_DEP_3) | instskip(NEXT) | instid1(VALU_DEP_2)
	v_mul_u32_u24_e32 v2, 0x10001, v3
	v_mov_b32_e32 v50, v0
	s_delay_alu instid0(VALU_DEP_2)
	v_pk_mul_f16 v57, v57, v2
	v_pk_mul_f16 v58, v58, v2
	;; [unrolled: 1-line block ×8, first 2 shown]
.LBB18_59:
	s_or_b32 exec_lo, exec_lo, s2
	s_delay_alu instid0(SALU_CYCLE_1)
	s_mov_b32 s2, exec_lo
	v_cmpx_eq_u32_e32 0, v47
	s_cbranch_execz .LBB18_61
; %bb.60:
	v_dual_mov_b32 v0, 0xfeffffff :: v_dual_mov_b32 v1, 0
	s_wait_loadcnt 0x1
	v_add_nc_u32_e32 v2, 0x1000, v44
	ds_store_2addr_b32 v2, v0, v1 offset1:32
.LBB18_61:
	s_or_b32 exec_lo, exec_lo, s2
	v_cmp_eq_u32_e32 vcc_lo, 0, v46
	v_lshlrev_b32_e32 v6, 2, v47
	s_wait_loadcnt_dscnt 0x0
	s_barrier_signal -1
	s_barrier_wait -1
	s_and_saveexec_b32 s2, vcc_lo
; %bb.62:
	ds_store_b32 v6, v8 offset:4096
; %bb.63:
	s_or_b32 exec_lo, exec_lo, s2
	s_wait_dscnt 0x0
	s_barrier_signal -1
	s_barrier_wait -1
	ds_load_b32 v0, v44 offset:4096
	v_xor_b32_e32 v2, 8, v48
	v_xor_b32_e32 v1, 16, v48
	s_load_b32 s1, s[0:1], 0xd4
	s_delay_alu instid0(VALU_DEP_1) | instskip(NEXT) | instid1(VALU_DEP_1)
	v_cmp_gt_i32_e64 s2, 32, v1
	v_cndmask_b32_e64 v1, v48, v1, s2
	s_delay_alu instid0(VALU_DEP_1)
	v_lshlrev_b32_e32 v5, 2, v1
	s_wait_dscnt 0x0
	ds_bpermute_b32 v1, v5, v0
	s_wait_dscnt 0x0
	v_dual_max_num_f32 v0, v0, v0 :: v_dual_max_num_f32 v3, v1, v1
	v_cmp_gt_i32_e64 s2, 32, v2
	s_delay_alu instid0(VALU_DEP_2) | instskip(NEXT) | instid1(VALU_DEP_2)
	v_max_num_f32_e32 v0, v0, v3
	v_dual_cndmask_b32 v2, v48, v2, s2 :: v_dual_bitop2_b32 v3, 4, v48 bitop3:0x14
	s_delay_alu instid0(VALU_DEP_1) | instskip(NEXT) | instid1(VALU_DEP_2)
	v_lshlrev_b32_e32 v1, 2, v2
	v_cmp_gt_i32_e64 s2, 32, v3
	ds_bpermute_b32 v2, v1, v0
	s_wait_dscnt 0x0
	v_dual_cndmask_b32 v3, v48, v3, s2 :: v_dual_max_num_f32 v4, v2, v2
	s_delay_alu instid0(VALU_DEP_1) | instskip(SKIP_3) | instid1(VALU_DEP_1)
	v_dual_lshlrev_b32 v2, 2, v3 :: v_dual_max_num_f32 v0, v0, v4
	ds_bpermute_b32 v3, v2, v0
	s_wait_dscnt 0x0
	v_dual_max_num_f32 v7, v3, v3 :: v_dual_bitop2_b32 v4, 2, v48 bitop3:0x14
	v_cmp_gt_i32_e64 s2, 32, v4
	s_delay_alu instid0(VALU_DEP_2) | instskip(NEXT) | instid1(VALU_DEP_2)
	v_dual_max_num_f32 v0, v0, v7 :: v_dual_bitop2_b32 v7, 1, v48 bitop3:0x14
	v_cndmask_b32_e64 v4, v48, v4, s2
	s_delay_alu instid0(VALU_DEP_2) | instskip(NEXT) | instid1(VALU_DEP_1)
	v_cmp_gt_i32_e64 s2, 32, v7
	v_dual_cndmask_b32 v7, v48, v7, s2 :: v_dual_lshlrev_b32 v3, 2, v4
	ds_bpermute_b32 v4, v3, v0
	s_wait_dscnt 0x0
	v_dual_max_num_f32 v9, v4, v4 :: v_dual_lshlrev_b32 v4, 2, v7
	s_delay_alu instid0(VALU_DEP_1) | instskip(SKIP_3) | instid1(VALU_DEP_1)
	v_max_num_f32_e32 v0, v0, v9
	ds_bpermute_b32 v7, v4, v0
	s_wait_dscnt 0x0
	v_max_num_f32_e32 v7, v7, v7
	v_max_num_f32_e32 v0, v0, v7
	s_delay_alu instid0(VALU_DEP_1) | instskip(NEXT) | instid1(VALU_DEP_1)
	v_sub_f32_e32 v7, v8, v0
	v_mul_f32_e32 v8, 0x3fb8aa3b, v7
	s_delay_alu instid0(VALU_DEP_1) | instskip(SKIP_1) | instid1(VALU_DEP_1)
	v_fma_f32 v9, 0x3fb8aa3b, v7, -v8
	v_rndne_f32_e32 v10, v8
	v_dual_fmamk_f32 v9, v7, 0x32a5705f, v9 :: v_dual_sub_f32 v8, v8, v10
	s_delay_alu instid0(VALU_DEP_1) | instskip(SKIP_2) | instid1(VALU_DEP_3)
	v_add_f32_e32 v8, v8, v9
	v_cvt_i32_f32_e32 v9, v10
	v_cmp_ngt_f32_e64 s2, 0xc2ce8ed0, v7
	v_exp_f32_e32 v8, v8
	v_nop
	s_delay_alu instid0(TRANS32_DEP_1) | instskip(NEXT) | instid1(VALU_DEP_1)
	v_ldexp_f32 v8, v8, v9
	v_cndmask_b32_e64 v8, 0, v8, s2
	v_cmp_nlt_f32_e64 s2, 0x42b17218, v7
	s_delay_alu instid0(VALU_DEP_1) | instskip(NEXT) | instid1(VALU_DEP_1)
	v_cndmask_b32_e64 v7, 0x7f800000, v8, s2
	v_mul_f32_e32 v8, v50, v7
	ds_bpermute_b32 v8, v5, v8
	s_wait_dscnt 0x0
	v_fmac_f32_e32 v8, v50, v7
	v_cvt_f16_f32_e32 v7, v7
	ds_bpermute_b32 v9, v1, v8
	v_and_b32_e32 v10, 0xffff, v7
	s_delay_alu instid0(VALU_DEP_1) | instskip(NEXT) | instid1(VALU_DEP_1)
	v_mul_u32_u24_e32 v10, 0x10001, v10
	v_pk_mul_f16 v11, v57, v10
	v_pk_mul_f16 v14, v56, v10
	v_pk_mul_f16 v12, v58, v10
	v_pk_mul_f16 v13, v55, v10
	v_pk_mul_f16 v16, v53, v10
	v_pk_mul_f16 v17, v51, v10
	v_pk_mul_f16 v15, v52, v10
	v_pk_mul_f16 v10, v54, v10
	s_wait_dscnt 0x0
	v_add_f32_e32 v8, v8, v9
	ds_bpermute_b32 v9, v2, v8
	s_wait_dscnt 0x0
	v_add_f32_e32 v8, v8, v9
	ds_bpermute_b32 v9, v3, v8
	s_wait_dscnt 0x0
	v_dual_add_f32 v7, v8, v9 :: v_dual_lshlrev_b32 v9, 5, v46
	ds_bpermute_b32 v8, v4, v7
	v_and_b32_e32 v9, 0xf00, v9
	s_delay_alu instid0(VALU_DEP_1) | instskip(NEXT) | instid1(VALU_DEP_1)
	v_lshl_add_u32 v9, v47, 10, v9
	v_lshl_or_b32 v9, v45, 2, v9
	ds_store_2addr_b32 v9, v11, v14 offset1:3
	ds_store_2addr_b32 v9, v12, v13 offset0:1 offset1:2
	ds_store_2addr_b32 v9, v16, v17 offset0:33 offset1:34
	;; [unrolled: 1-line block ×3, first 2 shown]
	s_wait_xcnt 0x0
	s_and_saveexec_b32 s0, vcc_lo
	s_cbranch_execz .LBB18_65
; %bb.64:
	s_wait_dscnt 0x4
	v_add_f32_e32 v7, v7, v8
	ds_store_b32 v6, v7 offset:4224
.LBB18_65:
	s_or_b32 exec_lo, exec_lo, s0
	s_wait_dscnt 0x0
	s_barrier_signal -1
	s_barrier_wait -1
	ds_load_u16 v6, v43
	ds_load_u16 v7, v43 offset:256
	ds_load_u16 v8, v43 offset:512
	;; [unrolled: 1-line block ×6, first 2 shown]
	s_mul_i32 s0, s26, s24
	s_delay_alu instid0(SALU_CYCLE_1) | instskip(NEXT) | instid1(SALU_CYCLE_1)
	s_add_co_i32 s0, s0, s30
	s_mul_i32 s0, s0, s25
	s_delay_alu instid0(SALU_CYCLE_1) | instskip(SKIP_2) | instid1(SALU_CYCLE_1)
	s_add_co_i32 s0, s0, s29
	s_wait_kmcnt 0x0
	s_mul_i32 s2, s1, s0
	s_add_co_i32 s2, s2, s33
	s_cmp_eq_u32 s1, 1
	s_wait_dscnt 0x6
	v_cvt_f32_f16_e32 v6, v6
	s_wait_dscnt 0x5
	v_cvt_f32_f16_e32 v7, v7
	;; [unrolled: 2-line block ×5, first 2 shown]
	v_add_f32_e32 v6, 0, v6
	s_cselect_b32 s0, -1, 0
	s_cmp_lg_u32 s1, 1
	s_delay_alu instid0(VALU_DEP_1) | instskip(NEXT) | instid1(VALU_DEP_1)
	v_add_f32_e32 v6, v6, v7
	v_add_f32_e32 v6, v6, v8
	ds_load_u16 v8, v43 offset:1792
	ds_load_b32 v7, v44 offset:4224
	ds_load_u16 v13, v43 offset:2048
	v_add_f32_e32 v6, v6, v9
	s_wait_dscnt 0x4
	v_cvt_f32_f16_e32 v9, v11
	s_wait_dscnt 0x3
	v_cvt_f32_f16_e32 v11, v12
	v_add_f32_e32 v6, v6, v10
	ds_load_u16 v10, v43 offset:2304
	ds_load_u16 v12, v43 offset:2560
	;; [unrolled: 1-line block ×6, first 2 shown]
	v_add_f32_e32 v6, v6, v9
	s_wait_dscnt 0x8
	v_cvt_f32_f16_e32 v8, v8
	s_delay_alu instid0(VALU_DEP_2)
	v_add_f32_e32 v6, v6, v11
	s_wait_dscnt 0x7
	ds_bpermute_b32 v9, v5, v7
	s_wait_dscnt 0x7
	v_cvt_f32_f16_e32 v5, v13
	v_add_f32_e32 v6, v6, v8
	s_wait_dscnt 0x6
	v_cvt_f32_f16_e32 v8, v10
	s_delay_alu instid0(VALU_DEP_2) | instskip(SKIP_2) | instid1(VALU_DEP_2)
	v_add_f32_e32 v5, v6, v5
	s_wait_dscnt 0x5
	v_cvt_f32_f16_e32 v6, v12
	v_add_f32_e32 v5, v5, v8
	s_wait_dscnt 0x4
	v_cvt_f32_f16_e32 v8, v14
	s_delay_alu instid0(VALU_DEP_2) | instskip(SKIP_1) | instid1(VALU_DEP_1)
	v_add_f32_e32 v6, v5, v6
	s_wait_dscnt 0x0
	v_pk_add_f32 v[6:7], v[6:7], v[8:9]
	v_cvt_f32_f16_e32 v8, v15
	ds_bpermute_b32 v9, v1, v7
	ds_load_u16 v1, v43 offset:3840
	s_wait_dscnt 0x1
	v_pk_add_f32 v[6:7], v[6:7], v[8:9]
	v_cvt_f32_f16_e32 v8, v16
	ds_bpermute_b32 v9, v2, v7
	v_cvt_f32_f16_e32 v2, v17
	s_wait_dscnt 0x0
	v_pk_add_f32 v[6:7], v[6:7], v[8:9]
	ds_bpermute_b32 v3, v3, v7
	s_wait_dscnt 0x0
	v_pk_add_f32 v[2:3], v[6:7], v[2:3]
	ds_bpermute_b32 v5, v4, v3
	v_cvt_f32_f16_e32 v4, v1
	s_wait_dscnt 0x0
	s_delay_alu instid0(VALU_DEP_1) | instskip(NEXT) | instid1(VALU_DEP_1)
	v_pk_add_f32 v[2:3], v[2:3], v[4:5]
	v_div_scale_f32 v1, null, v3, v3, v2
	v_div_scale_f32 v6, vcc_lo, v2, v3, v2
	s_delay_alu instid0(VALU_DEP_2) | instskip(SKIP_1) | instid1(TRANS32_DEP_1)
	v_rcp_f32_e32 v4, v1
	v_nop
	v_fma_f32 v5, -v1, v4, 1.0
	s_delay_alu instid0(VALU_DEP_1) | instskip(NEXT) | instid1(VALU_DEP_1)
	v_fmac_f32_e32 v4, v5, v4
	v_mul_f32_e32 v5, v6, v4
	s_delay_alu instid0(VALU_DEP_1) | instskip(NEXT) | instid1(VALU_DEP_1)
	v_fma_f32 v7, -v1, v5, v6
	v_fmac_f32_e32 v5, v7, v4
	s_delay_alu instid0(VALU_DEP_1) | instskip(NEXT) | instid1(VALU_DEP_1)
	v_fma_f32 v1, -v1, v5, v6
	v_div_fmas_f32 v1, v1, v4, v5
	v_cmp_eq_u32_e32 vcc_lo, 0, v42
	v_lshl_or_b32 v4, s2, 7, v42
	s_delay_alu instid0(VALU_DEP_3) | instskip(NEXT) | instid1(VALU_DEP_1)
	v_div_fixup_f32 v1, v1, v3, v2
	v_cndmask_b32_e64 v1, v2, v1, s0
	s_cselect_b32 s0, -1, 0
	s_delay_alu instid0(SALU_CYCLE_1)
	s_and_b32 s0, vcc_lo, s0
	global_store_b32 v4, v1, s[16:17] scale_offset
	s_wait_xcnt 0x0
	s_and_saveexec_b32 s1, s0
	s_cbranch_execz .LBB18_67
; %bb.66:
	v_dual_mov_b32 v1, v3 :: v_dual_mov_b32 v2, s2
	global_store_b64 v2, v[0:1], s[18:19] scale_offset
.LBB18_67:
	s_sendmsg sendmsg(MSG_DEALLOC_VGPRS)
	s_endpgm
	.section	.rodata,"a",@progbits
	.p2align	6, 0x0
	.amdhsa_kernel _ZL18flash_attn_ext_vecILi128ELi1EL9ggml_type1ELS0_1ELb1EEvPKcS2_S2_S2_S2_PKiPfP15HIP_vector_typeIfLj2EEffffjfiS6_IjLj3EEiiiiiiiiiiiliiliiiiil
		.amdhsa_group_segment_fixed_size 4352
		.amdhsa_private_segment_fixed_size 0
		.amdhsa_kernarg_size 464
		.amdhsa_user_sgpr_count 2
		.amdhsa_user_sgpr_dispatch_ptr 0
		.amdhsa_user_sgpr_queue_ptr 0
		.amdhsa_user_sgpr_kernarg_segment_ptr 1
		.amdhsa_user_sgpr_dispatch_id 0
		.amdhsa_user_sgpr_kernarg_preload_length 0
		.amdhsa_user_sgpr_kernarg_preload_offset 0
		.amdhsa_user_sgpr_private_segment_size 0
		.amdhsa_wavefront_size32 1
		.amdhsa_uses_dynamic_stack 0
		.amdhsa_enable_private_segment 0
		.amdhsa_system_sgpr_workgroup_id_x 1
		.amdhsa_system_sgpr_workgroup_id_y 1
		.amdhsa_system_sgpr_workgroup_id_z 1
		.amdhsa_system_sgpr_workgroup_info 0
		.amdhsa_system_vgpr_workitem_id 1
		.amdhsa_next_free_vgpr 146
		.amdhsa_next_free_sgpr 46
		.amdhsa_named_barrier_count 0
		.amdhsa_reserve_vcc 1
		.amdhsa_float_round_mode_32 0
		.amdhsa_float_round_mode_16_64 0
		.amdhsa_float_denorm_mode_32 3
		.amdhsa_float_denorm_mode_16_64 3
		.amdhsa_fp16_overflow 0
		.amdhsa_memory_ordered 1
		.amdhsa_forward_progress 1
		.amdhsa_inst_pref_size 77
		.amdhsa_round_robin_scheduling 0
		.amdhsa_exception_fp_ieee_invalid_op 0
		.amdhsa_exception_fp_denorm_src 0
		.amdhsa_exception_fp_ieee_div_zero 0
		.amdhsa_exception_fp_ieee_overflow 0
		.amdhsa_exception_fp_ieee_underflow 0
		.amdhsa_exception_fp_ieee_inexact 0
		.amdhsa_exception_int_div_zero 0
	.end_amdhsa_kernel
	.section	.text._ZL18flash_attn_ext_vecILi128ELi1EL9ggml_type1ELS0_1ELb1EEvPKcS2_S2_S2_S2_PKiPfP15HIP_vector_typeIfLj2EEffffjfiS6_IjLj3EEiiiiiiiiiiiliiliiiiil,"axG",@progbits,_ZL18flash_attn_ext_vecILi128ELi1EL9ggml_type1ELS0_1ELb1EEvPKcS2_S2_S2_S2_PKiPfP15HIP_vector_typeIfLj2EEffffjfiS6_IjLj3EEiiiiiiiiiiiliiliiiiil,comdat
.Lfunc_end18:
	.size	_ZL18flash_attn_ext_vecILi128ELi1EL9ggml_type1ELS0_1ELb1EEvPKcS2_S2_S2_S2_PKiPfP15HIP_vector_typeIfLj2EEffffjfiS6_IjLj3EEiiiiiiiiiiiliiliiiiil, .Lfunc_end18-_ZL18flash_attn_ext_vecILi128ELi1EL9ggml_type1ELS0_1ELb1EEvPKcS2_S2_S2_S2_PKiPfP15HIP_vector_typeIfLj2EEffffjfiS6_IjLj3EEiiiiiiiiiiiliiliiiiil
                                        ; -- End function
	.set _ZL18flash_attn_ext_vecILi128ELi1EL9ggml_type1ELS0_1ELb1EEvPKcS2_S2_S2_S2_PKiPfP15HIP_vector_typeIfLj2EEffffjfiS6_IjLj3EEiiiiiiiiiiiliiliiiiil.num_vgpr, 146
	.set _ZL18flash_attn_ext_vecILi128ELi1EL9ggml_type1ELS0_1ELb1EEvPKcS2_S2_S2_S2_PKiPfP15HIP_vector_typeIfLj2EEffffjfiS6_IjLj3EEiiiiiiiiiiiliiliiiiil.num_agpr, 0
	.set _ZL18flash_attn_ext_vecILi128ELi1EL9ggml_type1ELS0_1ELb1EEvPKcS2_S2_S2_S2_PKiPfP15HIP_vector_typeIfLj2EEffffjfiS6_IjLj3EEiiiiiiiiiiiliiliiiiil.numbered_sgpr, 46
	.set _ZL18flash_attn_ext_vecILi128ELi1EL9ggml_type1ELS0_1ELb1EEvPKcS2_S2_S2_S2_PKiPfP15HIP_vector_typeIfLj2EEffffjfiS6_IjLj3EEiiiiiiiiiiiliiliiiiil.num_named_barrier, 0
	.set _ZL18flash_attn_ext_vecILi128ELi1EL9ggml_type1ELS0_1ELb1EEvPKcS2_S2_S2_S2_PKiPfP15HIP_vector_typeIfLj2EEffffjfiS6_IjLj3EEiiiiiiiiiiiliiliiiiil.private_seg_size, 0
	.set _ZL18flash_attn_ext_vecILi128ELi1EL9ggml_type1ELS0_1ELb1EEvPKcS2_S2_S2_S2_PKiPfP15HIP_vector_typeIfLj2EEffffjfiS6_IjLj3EEiiiiiiiiiiiliiliiiiil.uses_vcc, 1
	.set _ZL18flash_attn_ext_vecILi128ELi1EL9ggml_type1ELS0_1ELb1EEvPKcS2_S2_S2_S2_PKiPfP15HIP_vector_typeIfLj2EEffffjfiS6_IjLj3EEiiiiiiiiiiiliiliiiiil.uses_flat_scratch, 0
	.set _ZL18flash_attn_ext_vecILi128ELi1EL9ggml_type1ELS0_1ELb1EEvPKcS2_S2_S2_S2_PKiPfP15HIP_vector_typeIfLj2EEffffjfiS6_IjLj3EEiiiiiiiiiiiliiliiiiil.has_dyn_sized_stack, 0
	.set _ZL18flash_attn_ext_vecILi128ELi1EL9ggml_type1ELS0_1ELb1EEvPKcS2_S2_S2_S2_PKiPfP15HIP_vector_typeIfLj2EEffffjfiS6_IjLj3EEiiiiiiiiiiiliiliiiiil.has_recursion, 0
	.set _ZL18flash_attn_ext_vecILi128ELi1EL9ggml_type1ELS0_1ELb1EEvPKcS2_S2_S2_S2_PKiPfP15HIP_vector_typeIfLj2EEffffjfiS6_IjLj3EEiiiiiiiiiiiliiliiiiil.has_indirect_call, 0
	.section	.AMDGPU.csdata,"",@progbits
; Kernel info:
; codeLenInByte = 9848
; TotalNumSgprs: 48
; NumVgprs: 146
; ScratchSize: 0
; MemoryBound: 0
; FloatMode: 240
; IeeeMode: 1
; LDSByteSize: 4352 bytes/workgroup (compile time only)
; SGPRBlocks: 0
; VGPRBlocks: 9
; NumSGPRsForWavesPerEU: 48
; NumVGPRsForWavesPerEU: 146
; NamedBarCnt: 0
; Occupancy: 6
; WaveLimiterHint : 1
; COMPUTE_PGM_RSRC2:SCRATCH_EN: 0
; COMPUTE_PGM_RSRC2:USER_SGPR: 2
; COMPUTE_PGM_RSRC2:TRAP_HANDLER: 0
; COMPUTE_PGM_RSRC2:TGID_X_EN: 1
; COMPUTE_PGM_RSRC2:TGID_Y_EN: 1
; COMPUTE_PGM_RSRC2:TGID_Z_EN: 1
; COMPUTE_PGM_RSRC2:TIDIG_COMP_CNT: 1
	.section	.text._ZL18flash_attn_ext_vecILi128ELi2EL9ggml_type1ELS0_1ELb0EEvPKcS2_S2_S2_S2_PKiPfP15HIP_vector_typeIfLj2EEffffjfiS6_IjLj3EEiiiiiiiiiiiliiliiiiil,"axG",@progbits,_ZL18flash_attn_ext_vecILi128ELi2EL9ggml_type1ELS0_1ELb0EEvPKcS2_S2_S2_S2_PKiPfP15HIP_vector_typeIfLj2EEffffjfiS6_IjLj3EEiiiiiiiiiiiliiliiiiil,comdat
	.globl	_ZL18flash_attn_ext_vecILi128ELi2EL9ggml_type1ELS0_1ELb0EEvPKcS2_S2_S2_S2_PKiPfP15HIP_vector_typeIfLj2EEffffjfiS6_IjLj3EEiiiiiiiiiiiliiliiiiil ; -- Begin function _ZL18flash_attn_ext_vecILi128ELi2EL9ggml_type1ELS0_1ELb0EEvPKcS2_S2_S2_S2_PKiPfP15HIP_vector_typeIfLj2EEffffjfiS6_IjLj3EEiiiiiiiiiiiliiliiiiil
	.p2align	8
	.type	_ZL18flash_attn_ext_vecILi128ELi2EL9ggml_type1ELS0_1ELb0EEvPKcS2_S2_S2_S2_PKiPfP15HIP_vector_typeIfLj2EEffffjfiS6_IjLj3EEiiiiiiiiiiiliiliiiiil,@function
_ZL18flash_attn_ext_vecILi128ELi2EL9ggml_type1ELS0_1ELb0EEvPKcS2_S2_S2_S2_PKiPfP15HIP_vector_typeIfLj2EEffffjfiS6_IjLj3EEiiiiiiiiiiiliiliiiiil: ; @_ZL18flash_attn_ext_vecILi128ELi2EL9ggml_type1ELS0_1ELb0EEvPKcS2_S2_S2_S2_PKiPfP15HIP_vector_typeIfLj2EEffffjfiS6_IjLj3EEiiiiiiiiiiiliiliiiiil
; %bb.0:
	s_clause 0x2
	s_load_b64 s[28:29], s[2:3], 0x64
	s_load_b64 s[38:39], s[2:3], 0x80
	;; [unrolled: 1-line block ×3, first 2 shown]
	s_bfe_u32 s6, ttmp6, 0x40014
	s_lshr_b32 s5, ttmp7, 16
	s_add_co_i32 s6, s6, 1
	s_bfe_u32 s7, ttmp6, 0x40008
	s_mul_i32 s6, s5, s6
	s_getreg_b32 s27, hwreg(HW_REG_IB_STS2, 6, 4)
	s_add_co_i32 s7, s7, s6
	s_load_b128 s[20:23], s[2:3], 0x40
	v_mov_b32_e32 v81, 1.0
	s_mov_b32 s37, 0
	s_wait_kmcnt 0x0
	s_cvt_f32_u32 s4, s29
	s_sub_co_i32 s8, 0, s29
	s_delay_alu instid0(SALU_CYCLE_2) | instskip(SKIP_1) | instid1(TRANS32_DEP_1)
	v_rcp_iflag_f32_e32 v1, s4
	v_nop
	v_readfirstlane_b32 s4, v1
	s_mul_f32 s4, s4, 0x4f7ffffe
	s_delay_alu instid0(SALU_CYCLE_3) | instskip(NEXT) | instid1(SALU_CYCLE_3)
	s_cvt_u32_f32 s4, s4
	s_mul_i32 s8, s8, s4
	s_delay_alu instid0(SALU_CYCLE_1) | instskip(NEXT) | instid1(SALU_CYCLE_1)
	s_mul_hi_u32 s8, s4, s8
	s_add_co_i32 s4, s4, s8
	s_cmp_eq_u32 s27, 0
	s_cselect_b32 s5, s5, s7
	s_delay_alu instid0(SALU_CYCLE_1) | instskip(NEXT) | instid1(SALU_CYCLE_1)
	s_mul_hi_u32 s4, s5, s4
	s_mul_i32 s6, s4, s29
	s_add_co_i32 s7, s4, 1
	s_sub_co_i32 s6, s5, s6
	s_delay_alu instid0(SALU_CYCLE_1)
	s_sub_co_i32 s8, s6, s29
	s_cmp_ge_u32 s6, s29
	s_cselect_b32 s4, s7, s4
	s_cselect_b32 s6, s8, s6
	s_add_co_i32 s7, s4, 1
	s_cmp_ge_u32 s6, s29
	s_cselect_b32 s30, s7, s4
	s_abs_i32 s4, s39
	s_abs_i32 s9, s29
	s_cvt_f32_u32 s6, s4
	s_sub_co_i32 s7, 0, s4
	s_xor_b32 s8, s29, s39
	s_delay_alu instid0(SALU_CYCLE_1) | instskip(SKIP_2) | instid1(TRANS32_DEP_1)
	v_rcp_iflag_f32_e32 v1, s6
	s_ashr_i32 s8, s8, 31
	v_nop
	v_readfirstlane_b32 s6, v1
	s_mul_f32 s6, s6, 0x4f7ffffe
	s_delay_alu instid0(SALU_CYCLE_3) | instskip(NEXT) | instid1(SALU_CYCLE_3)
	s_cvt_u32_f32 s6, s6
	s_mul_i32 s7, s7, s6
	s_delay_alu instid0(SALU_CYCLE_1) | instskip(NEXT) | instid1(SALU_CYCLE_1)
	s_mul_hi_u32 s7, s6, s7
	s_add_co_i32 s6, s6, s7
	s_mul_i32 s7, s30, s29
	s_mul_hi_u32 s6, s9, s6
	s_sub_co_i32 s33, s5, s7
	s_mul_i32 s10, s6, s4
	s_add_co_i32 s7, s6, 1
	s_sub_co_i32 s5, s9, s10
	s_delay_alu instid0(SALU_CYCLE_1)
	s_sub_co_i32 s9, s5, s4
	s_cmp_ge_u32 s5, s4
	s_cselect_b32 s6, s7, s6
	s_cselect_b32 s5, s9, s5
	s_add_co_i32 s7, s6, 1
	s_cmp_ge_u32 s5, s4
	s_cselect_b32 s4, s7, s6
	s_abs_i32 s34, s34
	s_xor_b32 s5, s4, s8
	s_load_b32 s4, s[2:3], 0x50
	s_sub_co_i32 s31, s5, s8
	s_cvt_f32_u32 s5, s34
	s_abs_i32 s39, s31
	s_cmp_le_f32 s21, 0
	s_cvt_f32_u32 s6, s39
	v_rcp_iflag_f32_e32 v1, s5
	s_delay_alu instid0(SALU_CYCLE_2) | instskip(NEXT) | instid1(TRANS32_DEP_2)
	v_rcp_iflag_f32_e32 v2, s6
	v_readfirstlane_b32 s21, v1
	s_delay_alu instid0(TRANS32_DEP_1)
	v_readfirstlane_b32 s36, v2
	s_cbranch_scc1 .LBB19_2
; %bb.1:
	s_wait_kmcnt 0x0
	v_sub_co_u32 v1, s4, s33, s4
	s_and_b32 s6, s4, exec_lo
	s_cselect_b32 s6, s22, s23
	s_add_co_i32 s7, s33, 1
	v_readfirstlane_b32 s5, v1
	s_lshl_b32 s5, s5, 1
	s_delay_alu instid0(SALU_CYCLE_1) | instskip(SKIP_4) | instid1(SALU_CYCLE_3)
	s_or_b32 s5, s5, 1
	s_and_b32 s4, s4, exec_lo
	s_cselect_b32 s4, s7, s5
	s_cmp_neq_f32 s6, 1.0
	s_cvt_f32_i32 s4, s4
	s_cselect_b32 s5, s4, 1.0
	s_delay_alu instid0(SALU_CYCLE_1) | instskip(SKIP_1) | instid1(SALU_CYCLE_1)
	s_cmp_neq_f32 s5, 0
	s_cselect_b32 s4, s6, 1.0
	v_cvt_f64_f32_e64 v[2:3], |s4|
	s_delay_alu instid0(VALU_DEP_1) | instskip(SKIP_1) | instid1(VALU_DEP_1)
	v_frexp_exp_i32_f64_e32 v1, v[2:3]
	v_frexp_mant_f32_e64 v2, |s4|
	v_readfirstlane_b32 s6, v2
	s_cmp_lt_f32 s6, 0x3f2aaaab
	s_cselect_b32 vcc_lo, -1, 0
	s_delay_alu instid0(SALU_CYCLE_1) | instskip(SKIP_1) | instid1(SALU_CYCLE_1)
	s_and_b32 s7, vcc_lo, exec_lo
	s_cselect_b32 s7, 2.0, 1.0
	s_mul_f32 s6, s6, s7
	s_delay_alu instid0(SALU_CYCLE_3) | instskip(SKIP_1) | instid1(SALU_CYCLE_2)
	s_add_f32 s7, s6, 1.0
	s_add_f32 s9, s6, -1.0
	v_s_rcp_f32 s8, s7
	s_add_f32 s12, s7, -1.0
	v_subrev_co_ci_u32_e64 v1, null, 0, v1, vcc_lo
	s_delay_alu instid0(SALU_CYCLE_2) | instskip(NEXT) | instid1(TRANS32_DEP_1)
	s_sub_f32 s6, s6, s12
	s_mul_f32 s10, s9, s8
	v_cvt_f32_i32_e32 v1, v1
	s_delay_alu instid0(SALU_CYCLE_2) | instskip(NEXT) | instid1(SALU_CYCLE_3)
	s_mul_f32 s11, s7, s10
	v_dual_mov_b32 v3, s9 :: v_dual_mov_b32 v4, s11
	s_xor_b32 s13, s11, 0x80000000
	s_delay_alu instid0(SALU_CYCLE_1) | instskip(NEXT) | instid1(SALU_CYCLE_3)
	s_fmac_f32 s13, s10, s7
	s_fmac_f32 s13, s10, s6
	s_delay_alu instid0(SALU_CYCLE_3) | instskip(SKIP_2) | instid1(SALU_CYCLE_1)
	s_add_f32 s6, s11, s13
	v_mov_b32_e32 v6, s13
	s_mov_b32 s11, 0x3e76c4e1
	s_sub_f32 s7, s9, s6
	v_dual_mov_b32 v2, s6 :: v_dual_mov_b32 v7, s6
	s_delay_alu instid0(SALU_CYCLE_2) | instskip(NEXT) | instid1(VALU_DEP_1)
	v_mov_b32_e32 v5, s7
	v_pk_add_f32 v[2:3], v[2:3], v[4:5] neg_lo:[0,1] neg_hi:[0,1]
	s_delay_alu instid0(VALU_DEP_1) | instskip(NEXT) | instid1(VALU_DEP_1)
	v_pk_add_f32 v[2:3], v[2:3], v[6:7] neg_lo:[0,1] neg_hi:[0,1]
	v_readfirstlane_b32 s6, v3
	s_delay_alu instid0(VALU_DEP_2) | instskip(SKIP_1) | instid1(SALU_CYCLE_3)
	v_readfirstlane_b32 s9, v2
	s_add_f32 s6, s9, s6
	s_add_f32 s6, s7, s6
	s_delay_alu instid0(SALU_CYCLE_3) | instskip(NEXT) | instid1(SALU_CYCLE_3)
	s_mul_f32 s7, s8, s6
	s_add_f32 s6, s10, s7
	s_delay_alu instid0(SALU_CYCLE_3) | instskip(SKIP_1) | instid1(SALU_CYCLE_2)
	s_sub_f32 s8, s6, s10
	s_mul_f32 s9, s6, s6
	s_sub_f32 s10, s7, s8
	s_delay_alu instid0(SALU_CYCLE_2) | instskip(NEXT) | instid1(SALU_CYCLE_1)
	s_xor_b32 s7, s9, 0x80000000
	s_fmac_f32 s7, s6, s6
	s_delay_alu instid0(SALU_CYCLE_1) | instskip(NEXT) | instid1(SALU_CYCLE_3)
	s_add_f32 s8, s10, s10
	s_fmac_f32 s7, s6, s8
	s_delay_alu instid0(SALU_CYCLE_3) | instskip(NEXT) | instid1(SALU_CYCLE_3)
	s_add_f32 s8, s9, s7
	s_fmaak_f32 s11, s8, s11, 0x3e91f4c4
	s_sub_f32 s9, s8, s9
	s_delay_alu instid0(SALU_CYCLE_2) | instskip(NEXT) | instid1(SALU_CYCLE_2)
	s_fmaak_f32 s11, s8, s11, 0x3ecccdef
	s_sub_f32 s14, s7, s9
	s_delay_alu instid0(SALU_CYCLE_2) | instskip(NEXT) | instid1(SALU_CYCLE_3)
	s_mul_f32 s12, s8, s11
	s_xor_b32 s13, s12, 0x80000000
	s_delay_alu instid0(SALU_CYCLE_1) | instskip(NEXT) | instid1(SALU_CYCLE_3)
	s_fmac_f32 s13, s8, s11
	s_fmac_f32 s13, s14, s11
	s_delay_alu instid0(SALU_CYCLE_3) | instskip(NEXT) | instid1(SALU_CYCLE_3)
	s_add_f32 s9, s12, s13
	s_sub_f32 s7, s9, s12
	s_add_f32 s11, s9, 0x3f2aaaaa
	s_delay_alu instid0(SALU_CYCLE_2) | instskip(NEXT) | instid1(SALU_CYCLE_2)
	s_sub_f32 s7, s13, s7
	s_add_f32 s12, s11, 0xbf2aaaaa
	s_delay_alu instid0(SALU_CYCLE_2) | instskip(NEXT) | instid1(SALU_CYCLE_2)
	s_add_f32 s7, s7, 0x31739010
	s_sub_f32 s9, s9, s12
	s_delay_alu instid0(SALU_CYCLE_2) | instskip(NEXT) | instid1(SALU_CYCLE_2)
	v_mov_b64_e32 v[2:3], s[6:7]
	v_mov_b64_e32 v[4:5], s[8:9]
	s_delay_alu instid0(VALU_DEP_1) | instskip(SKIP_2) | instid1(VALU_DEP_3)
	v_pk_mul_f32 v[6:7], v[2:3], v[4:5]
	v_pk_add_f32 v[2:3], v[2:3], v[4:5]
	v_mov_b32_e32 v9, s11
	v_xor_b32_e32 v8, 0x80000000, v6
	s_delay_alu instid0(VALU_DEP_3) | instskip(NEXT) | instid1(VALU_DEP_2)
	v_mov_b32_e32 v7, v3
	v_fmac_f32_e64 v8, s8, s6
	s_delay_alu instid0(VALU_DEP_1) | instskip(NEXT) | instid1(VALU_DEP_1)
	v_fmac_f32_e64 v8, s8, s10
	v_fmac_f32_e64 v8, s14, s6
	s_delay_alu instid0(VALU_DEP_1) | instskip(NEXT) | instid1(VALU_DEP_1)
	v_pk_add_f32 v[4:5], v[6:7], v[8:9]
	v_dual_mov_b32 v2, v5 :: v_dual_sub_f32 v7, s11, v5
	v_mul_f32_e32 v12, 0x3f317218, v1
	s_delay_alu instid0(VALU_DEP_2) | instskip(NEXT) | instid1(VALU_DEP_3)
	v_pk_mul_f32 v[10:11], v[4:5], v[2:3]
	v_add_f32_e32 v3, v3, v7
	s_delay_alu instid0(VALU_DEP_3) | instskip(NEXT) | instid1(VALU_DEP_3)
	v_xor_b32_e32 v7, 0x80000000, v12
	v_xor_b32_e32 v2, 0x80000000, v10
	s_delay_alu instid0(VALU_DEP_2) | instskip(NEXT) | instid1(VALU_DEP_2)
	v_dual_sub_f32 v6, v4, v6 :: v_dual_fmac_f32 v7, 0x3f317218, v1
	v_fmac_f32_e32 v2, v4, v5
	s_delay_alu instid0(VALU_DEP_2) | instskip(NEXT) | instid1(VALU_DEP_2)
	v_sub_f32_e32 v6, v8, v6
	v_fmac_f32_e32 v2, v4, v3
	s_delay_alu instid0(VALU_DEP_1) | instskip(SKIP_3) | instid1(VALU_DEP_2)
	v_fmac_f32_e32 v2, v6, v5
	v_fmamk_f32 v4, v1, 0xb102e308, v7
	v_ldexp_f32 v5, s6, 1
	v_ldexp_f32 v1, s10, 1
	v_dual_add_f32 v13, v10, v2 :: v_dual_mov_b32 v11, v5
	s_delay_alu instid0(VALU_DEP_1) | instskip(SKIP_1) | instid1(VALU_DEP_2)
	v_pk_add_f32 v[6:7], v[12:13], v[4:5]
	v_dual_mov_b32 v8, v13 :: v_dual_mov_b32 v3, v13
	v_dual_mov_b32 v9, v7 :: v_dual_mov_b32 v5, v6
	v_mov_b32_e32 v14, v7
	s_delay_alu instid0(VALU_DEP_2) | instskip(NEXT) | instid1(VALU_DEP_1)
	v_pk_add_f32 v[8:9], v[8:9], v[10:11] neg_lo:[0,1] neg_hi:[0,1]
	v_pk_add_f32 v[2:3], v[2:3], v[8:9] neg_lo:[0,1] neg_hi:[0,1]
	s_delay_alu instid0(VALU_DEP_1) | instskip(NEXT) | instid1(VALU_DEP_1)
	v_add_f32_e32 v1, v1, v2
	v_add_f32_e32 v13, v1, v3
	s_delay_alu instid0(VALU_DEP_1) | instskip(SKIP_1) | instid1(VALU_DEP_2)
	v_pk_add_f32 v[2:3], v[6:7], v[12:13]
	v_pk_add_f32 v[8:9], v[6:7], v[12:13] neg_lo:[0,1] neg_hi:[0,1]
	v_mov_b32_e32 v9, v3
	s_delay_alu instid0(VALU_DEP_1) | instskip(SKIP_2) | instid1(VALU_DEP_3)
	v_pk_add_f32 v[10:11], v[4:5], v[8:9]
	v_pk_add_f32 v[4:5], v[4:5], v[8:9] neg_lo:[0,1] neg_hi:[0,1]
	v_dual_mov_b32 v16, v3 :: v_dual_mov_b32 v5, v6
	v_dual_mov_b32 v12, v11 :: v_dual_mov_b32 v17, v11
	s_delay_alu instid0(VALU_DEP_3) | instskip(NEXT) | instid1(VALU_DEP_2)
	v_readfirstlane_b32 s6, v4
	v_pk_add_f32 v[8:9], v[12:13], v[6:7] neg_lo:[0,1] neg_hi:[0,1]
	s_delay_alu instid0(VALU_DEP_2) | instskip(NEXT) | instid1(VALU_DEP_2)
	v_dual_mov_b32 v4, v13 :: v_dual_mov_b32 v10, s6
	v_dual_mov_b32 v15, v8 :: v_dual_mov_b32 v1, v8
	s_delay_alu instid0(VALU_DEP_1) | instskip(NEXT) | instid1(VALU_DEP_2)
	v_pk_add_f32 v[6:7], v[16:17], v[14:15] neg_lo:[0,1] neg_hi:[0,1]
	v_pk_add_f32 v[2:3], v[2:3], v[0:1] neg_lo:[0,1] neg_hi:[0,1]
	v_mov_b32_e32 v2, s6
	s_delay_alu instid0(VALU_DEP_3) | instskip(NEXT) | instid1(VALU_DEP_1)
	v_pk_add_f32 v[4:5], v[4:5], v[6:7] neg_lo:[0,1] neg_hi:[0,1]
	v_pk_add_f32 v[2:3], v[2:3], v[4:5]
	s_delay_alu instid0(VALU_DEP_1) | instskip(NEXT) | instid1(VALU_DEP_2)
	v_readfirstlane_b32 s7, v2
	v_mov_b32_e32 v6, v3
	s_delay_alu instid0(VALU_DEP_1) | instskip(NEXT) | instid1(VALU_DEP_3)
	v_pk_add_f32 v[6:7], v[2:3], v[6:7]
	v_mov_b32_e32 v2, s7
	s_delay_alu instid0(VALU_DEP_2) | instskip(SKIP_1) | instid1(VALU_DEP_2)
	v_pk_add_f32 v[8:9], v[12:13], v[6:7]
	v_mov_b32_e32 v5, v6
	v_readfirstlane_b32 s8, v8
	s_delay_alu instid0(VALU_DEP_1) | instskip(NEXT) | instid1(VALU_DEP_1)
	v_mov_b32_e32 v3, s8
	v_pk_add_f32 v[2:3], v[2:3], v[10:11] neg_lo:[0,1] neg_hi:[0,1]
	s_delay_alu instid0(VALU_DEP_1) | instskip(NEXT) | instid1(VALU_DEP_2)
	v_readfirstlane_b32 s9, v2
	v_pk_add_f32 v[2:3], v[4:5], v[2:3] neg_lo:[0,1] neg_hi:[0,1]
	s_sub_f32 s7, s7, s9
	s_delay_alu instid0(VALU_DEP_1) | instskip(NEXT) | instid1(SALU_CYCLE_2)
	v_readfirstlane_b32 s9, v2
	s_sub_f32 s6, s6, s7
	v_readfirstlane_b32 s7, v3
	s_delay_alu instid0(SALU_CYCLE_2) | instskip(NEXT) | instid1(SALU_CYCLE_3)
	s_add_f32 s6, s9, s6
	s_add_f32 s6, s6, s7
	s_delay_alu instid0(SALU_CYCLE_3) | instskip(NEXT) | instid1(SALU_CYCLE_3)
	s_add_f32 s7, s8, s6
	s_mul_f32 s9, s5, s7
	s_sub_f32 s8, s7, s8
	s_delay_alu instid0(SALU_CYCLE_2) | instskip(NEXT) | instid1(SALU_CYCLE_2)
	s_xor_b32 s10, s9, 0x80000000
	s_sub_f32 s6, s6, s8
	s_fmac_f32 s10, s5, s7
	s_delay_alu instid0(SALU_CYCLE_3) | instskip(SKIP_1) | instid1(SALU_CYCLE_2)
	s_fmac_f32 s10, s5, s6
	v_cmp_class_f32_e64 s6, s9, 0x204
	s_add_f32 s7, s9, s10
	s_and_b32 s6, s6, exec_lo
	s_delay_alu instid0(SALU_CYCLE_2) | instskip(SKIP_1) | instid1(SALU_CYCLE_1)
	s_sub_f32 s6, s7, s9
	s_cselect_b32 s7, s9, s7
	s_and_b32 s8, s7, 0x7fffffff
	s_delay_alu instid0(SALU_CYCLE_1) | instskip(SKIP_1) | instid1(SALU_CYCLE_2)
	s_sub_f32 s6, s10, s6
	s_cmp_neq_f32 s8, 0x7f800000
	s_cselect_b32 s6, s6, 0
	s_cmp_eq_f32 s7, 0x42b17218
	s_cselect_b32 s8, 0x37000000, 0
	s_delay_alu instid0(SALU_CYCLE_1) | instskip(SKIP_1) | instid1(SALU_CYCLE_2)
	s_sub_f32 s7, s7, s8
	s_add_f32 s6, s8, s6
	s_mul_f32 s9, s7, 0x3fb8aa3b
	s_delay_alu instid0(SALU_CYCLE_3) | instskip(SKIP_3) | instid1(SALU_CYCLE_1)
	s_xor_b32 s10, s9, 0x80000000
	s_rndne_f32 s11, s9
	s_fmamk_f32 s10, s7, 0x3fb8aa3b, s10
	s_cmp_nlt_f32 s7, 0xc2ce8ed0
	s_sub_f32 s9, s9, s11
	s_delay_alu instid0(SALU_CYCLE_1)
	s_fmamk_f32 s10, s7, 0x32a5705f, s10
	s_cselect_b32 vcc_lo, -1, 0
	s_cmp_ngt_f32 s7, 0x42b17218
	s_trunc_f32 s7, s5
	s_add_f32 s9, s9, s10
	s_cvt_i32_f32 s10, s11
	s_delay_alu instid0(SALU_CYCLE_2)
	v_s_exp_f32 s9, s9
	v_nop
	s_delay_alu instid0(TRANS32_DEP_1) | instid1(SALU_CYCLE_1)
	v_ldexp_f32 v1, s9, s10
	s_mul_f32 s9, s5, 0.5
	s_delay_alu instid0(VALU_DEP_1) | instskip(SKIP_3) | instid1(VALU_DEP_1)
	v_cndmask_b32_e32 v1, 0, v1, vcc_lo
	s_cselect_b32 vcc_lo, -1, 0
	s_cmp_eq_f32 s7, s5
	s_trunc_f32 s10, s9
	v_cndmask_b32_e32 v1, 0x7f800000, v1, vcc_lo
	s_cselect_b32 s11, -1, 0
	s_delay_alu instid0(SALU_CYCLE_1) | instskip(NEXT) | instid1(VALU_DEP_1)
	s_cmp_neq_f32 s10, s9
	v_fma_f32 v2, s6, v1, v1
	v_cmp_class_f32_e64 vcc_lo, v1, 0x204
	s_cselect_b32 s8, -1, 0
	s_delay_alu instid0(SALU_CYCLE_1)
	s_and_b32 s6, s11, s8
	v_cndmask_b32_e32 v1, v2, v1, vcc_lo
	s_and_b32 s8, s6, exec_lo
	s_cselect_b32 s8, s4, 1.0
	s_cmp_eq_f32 s7, s5
	v_cmp_class_f32_e64 s7, s4, 0x204
	v_bfi_b32 v1, 0x7fffffff, v1, s8
	s_cselect_b32 vcc_lo, -1, 0
	s_cmp_lt_f32 s4, 0
	s_delay_alu instid0(VALU_DEP_1) | instskip(SKIP_2) | instid1(VALU_DEP_1)
	v_cndmask_b32_e32 v2, 0x7fc00000, v1, vcc_lo
	s_cselect_b32 vcc_lo, -1, 0
	s_cmp_eq_f32 s4, 0
	v_cndmask_b32_e32 v1, v1, v2, vcc_lo
	s_cselect_b32 s8, -1, 0
	s_delay_alu instid0(SALU_CYCLE_1) | instskip(SKIP_2) | instid1(SALU_CYCLE_1)
	s_or_b32 vcc_lo, s8, s7
	s_cmp_lt_f32 s5, 0
	s_cselect_b32 s5, -1, 0
	s_xor_b32 s5, s5, s8
	s_delay_alu instid0(SALU_CYCLE_1)
	s_and_b32 s5, s5, exec_lo
	s_cselect_b32 s5, 0, 0x7f800000
	s_and_b32 s6, s6, exec_lo
	s_cselect_b32 s6, s4, 0
	s_cmp_o_f32 s4, s4
	v_mov_b32_e32 v2, s6
	s_delay_alu instid0(VALU_DEP_1) | instskip(NEXT) | instid1(VALU_DEP_1)
	v_bfi_b32 v2, 0x7fffffff, s5, v2
	v_cndmask_b32_e32 v1, v1, v2, vcc_lo
	s_cselect_b32 vcc_lo, -1, 0
	s_delay_alu instid0(VALU_DEP_1)
	v_cndmask_b32_e32 v81, 0x7fc00000, v1, vcc_lo
.LBB19_2:
	s_load_b64 s[22:23], s[0:1], 0x4
	s_load_b96 s[24:26], s[2:3], 0x70
	s_wait_kmcnt 0x0
	s_load_b512 s[4:19], s[2:3], 0x0
	v_bfe_u32 v77, v0, 10, 10
	s_bfe_u32 s0, ttmp6, 0x4000c
	s_and_b32 s1, ttmp6, 15
	s_add_co_i32 s0, s0, 1
	v_and_b32_e32 v21, 0x3ff, v0
	s_mul_i32 s0, ttmp9, s0
	v_bfe_u32 v0, v0, 20, 10
	s_add_co_i32 s1, s1, s0
	s_delay_alu instid0(VALU_DEP_2) | instskip(NEXT) | instid1(VALU_DEP_1)
	v_dual_mov_b32 v2, 0 :: v_dual_lshlrev_b32 v79, 2, v21
	v_and_b32_e32 v20, 28, v79
	v_mul_u32_u24_e32 v1, s23, v77
	s_lshr_b32 s0, s22, 16
	s_cmp_eq_u32 s27, 0
	s_mul_i32 s0, s0, s23
	s_cselect_b32 s22, ttmp9, s1
	v_mad_u32_u24 v1, s0, v21, v1
	s_lshl_b32 s40, s22, 1
	s_mul_i32 s0, s30, s26
	s_mul_i32 s1, s24, s40
	;; [unrolled: 1-line block ×3, first 2 shown]
	v_add_lshl_u32 v9, v1, v0, 6
	s_add_co_i32 s0, s0, s1
	s_delay_alu instid0(SALU_CYCLE_1) | instskip(NEXT) | instid1(SALU_CYCLE_1)
	s_add_co_i32 s0, s0, s23
	s_ashr_i32 s1, s0, 31
	s_delay_alu instid0(VALU_DEP_1)
	v_add_nc_u32_e32 v0, 0x1204, v9
	v_add_nc_u32_e32 v1, 0x120c, v9
	s_cmp_lt_i32 s40, s28
	v_add_nc_u32_e32 v3, 0x1214, v9
	v_add_nc_u32_e32 v4, 0x121c, v9
	s_cselect_b32 s45, -1, 0
	s_cmp_ge_i32 s40, s28
	v_add_nc_u32_e32 v5, 0x1224, v9
	v_add_nc_u32_e32 v8, 0x1000, v9
	ds_store_2addr_b32 v0, v2, v2 offset1:1
	ds_store_2addr_b32 v1, v2, v2 offset1:1
	;; [unrolled: 1-line block ×4, first 2 shown]
	v_lshlrev_b32_e32 v1, 3, v20
	v_add_nc_u32_e32 v6, 0x122c, v9
	s_cselect_b32 s42, -1, 0
	v_add_nc_u32_e32 v7, 0x1234, v9
	s_wait_kmcnt 0x0
	s_add_nc_u64 s[0:1], s[4:5], s[0:1]
	s_and_b32 vcc_lo, exec_lo, s42
	ds_store_2addr_b32 v5, v2, v2 offset1:1
	ds_store_2addr_b32 v6, v2, v2 offset1:1
	;; [unrolled: 1-line block ×3, first 2 shown]
	ds_store_2addr_b32 v8, v2, v2 offset0:128 offset1:143
	s_cbranch_vccnz .LBB19_5
; %bb.3:
	s_clause 0x1
	global_load_b128 v[2:5], v1, s[0:1]
	global_load_b128 v[10:13], v1, s[0:1] offset:16
	s_wait_loadcnt 0x1
	v_cvt_pk_f16_f32 v2, v2, v3
	v_cvt_pk_f16_f32 v8, v4, v5
	s_wait_loadcnt 0x0
	v_cvt_pk_f16_f32 v4, v10, v11
	v_cvt_pk_f16_f32 v3, v12, v13
	s_and_not1_b32 vcc_lo, exec_lo, s45
	s_cbranch_vccz .LBB19_6
.LBB19_4:
	v_dual_mov_b32 v6, 0 :: v_dual_mov_b32 v7, 0
	v_dual_mov_b32 v5, 0 :: v_dual_mov_b32 v0, 0
	s_branch .LBB19_7
.LBB19_5:
	v_dual_mov_b32 v8, 0 :: v_dual_mov_b32 v4, 0
	v_mov_b32_e32 v3, 0
	s_and_not1_b32 vcc_lo, exec_lo, s45
	s_cbranch_vccnz .LBB19_4
.LBB19_6:
	s_clause 0x1
	global_load_b128 v[10:13], v1, s[0:1] offset:256
	global_load_b128 v[14:17], v1, s[0:1] offset:272
	s_wait_loadcnt 0x1
	v_cvt_pk_f16_f32 v6, v10, v11
	v_cvt_pk_f16_f32 v7, v12, v13
	s_wait_loadcnt 0x0
	v_cvt_pk_f16_f32 v5, v14, v15
	v_cvt_pk_f16_f32 v0, v16, v17
.LBB19_7:
	s_or_b32 s4, s40, 1
	s_ashr_i32 s25, s24, 31
	s_cmp_lt_i32 s4, s28
	s_add_nc_u64 s[0:1], s[0:1], s[24:25]
	s_cselect_b32 s46, -1, 0
	s_cmp_ge_i32 s4, s28
	s_cbranch_scc1 .LBB19_10
; %bb.8:
	s_clause 0x1
	global_load_b128 v[12:15], v1, s[0:1]
	global_load_b128 v[16:19], v1, s[0:1] offset:16
	s_wait_loadcnt 0x1
	v_cvt_pk_f16_f32 v13, v12, v13
	v_cvt_pk_f16_f32 v14, v14, v15
	s_wait_loadcnt 0x0
	v_cvt_pk_f16_f32 v15, v16, v17
	v_cvt_pk_f16_f32 v16, v18, v19
	v_cndmask_b32_e64 v78, 0, 1, s46
	s_and_not1_b32 vcc_lo, exec_lo, s46
	s_cbranch_vccz .LBB19_11
.LBB19_9:
	v_dual_mov_b32 v17, 0 :: v_dual_mov_b32 v12, 0
	v_dual_mov_b32 v11, 0 :: v_dual_mov_b32 v10, 0
	s_cmp_eq_u64 s[14:15], 0
	s_mov_b32 s43, s38
	s_cbranch_scc0 .LBB19_12
	s_branch .LBB19_13
.LBB19_10:
	v_dual_mov_b32 v13, 0 :: v_dual_mov_b32 v14, 0
	v_dual_mov_b32 v15, 0 :: v_dual_mov_b32 v16, 0
	v_cndmask_b32_e64 v78, 0, 1, s46
	s_and_not1_b32 vcc_lo, exec_lo, s46
	s_cbranch_vccnz .LBB19_9
.LBB19_11:
	s_clause 0x1
	global_load_b128 v[22:25], v1, s[0:1] offset:256
	global_load_b128 v[26:29], v1, s[0:1] offset:272
	s_wait_loadcnt 0x1
	v_cvt_pk_f16_f32 v17, v22, v23
	v_cvt_pk_f16_f32 v12, v24, v25
	s_wait_loadcnt 0x0
	v_cvt_pk_f16_f32 v11, v26, v27
	v_cvt_pk_f16_f32 v10, v28, v29
	s_cmp_eq_u64 s[14:15], 0
	s_mov_b32 s43, s38
	s_cbranch_scc1 .LBB19_13
.LBB19_12:
	s_load_b32 s0, s[2:3], 0xd0
	s_wait_kmcnt 0x0
	s_mul_i32 s0, s0, s30
	s_delay_alu instid0(SALU_CYCLE_1)
	s_add_co_i32 s0, s0, s22
	s_load_b32 s43, s[14:15], s0 offset:0x0 scale_offset
.LBB19_13:
	v_lshlrev_b32_e32 v1, 5, v77
	s_wait_xcnt 0x0
	s_bfe_u32 s0, ttmp6, 0x40010
	s_and_b32 s1, ttmp7, 0xffff
	s_add_co_i32 s0, s0, 1
	s_bfe_u32 s4, ttmp6, 0x40004
	s_mul_i32 s0, s1, s0
	v_add_nc_u32_e32 v74, v1, v21
	s_add_co_i32 s4, s4, s0
	s_cmp_eq_u32 s27, 0
	v_add_nc_u32_e32 v76, 0x1200, v9
	s_cselect_b32 s41, s1, s4
	v_lshlrev_b32_e32 v75, 1, v74
	v_mbcnt_lo_u32_b32 v80, -1, 0
	s_lshl_b32 s44, s41, 7
	s_mov_b32 s25, 0
	s_wait_kmcnt 0x0
	s_cmp_ge_i32 s44, s43
	s_add_nc_u64 s[14:15], s[2:3], 0xd0
	s_cbranch_scc1 .LBB19_49
; %bb.14:
	s_mul_f32 s0, s36, 0x4f7ffffe
	s_mul_f32 s1, s21, 0x4f7ffffe
	s_sub_co_i32 s4, 0, s39
	s_sub_co_i32 s5, 0, s34
	s_cvt_u32_f32 s21, s0
	s_cvt_u32_f32 s1, s1
	s_cvt_f16_f32 s20, s20
	s_abs_i32 s36, s33
	s_mul_i32 s4, s4, s21
	s_mul_i32 s5, s5, s1
	s_mul_hi_u32 s4, s21, s4
	s_mul_hi_u32 s5, s1, s5
	s_add_co_i32 s4, s21, s4
	s_add_co_i32 s22, s1, s5
	s_mov_b32 s5, s37
	s_abs_i32 s0, s30
	s_mov_b32 s1, s37
	s_mov_b32 s23, s37
	s_mul_u64 s[4:5], s[36:37], s[4:5]
	s_and_b32 s4, 0xffff, s20
	s_mul_u64 s[48:49], s[0:1], s[22:23]
	s_clause 0x1
	s_load_b64 s[26:27], s[2:3], 0x8c
	s_load_b128 s[20:23], s[2:3], 0x98
	s_mul_i32 s52, s4, 0x10001
	s_mul_i32 s1, s5, s39
	v_pk_mul_f16 v112, v2, s52
	v_and_b32_e32 v2, 0x78, v21
	s_ashr_i32 s24, s33, 31
	s_ashr_i32 s47, s31, 31
	s_sub_co_i32 s1, s36, s1
	s_ashr_i32 s31, s30, 31
	v_dual_mov_b32 v31, 0 :: v_dual_add_nc_u32 v24, v1, v2
	s_xor_b32 s4, s24, s47
	s_add_co_i32 s24, s5, 1
	s_sub_co_i32 s36, s1, s39
	s_cmp_ge_u32 s1, s39
	v_pk_mul_f16 v119, v0, s52
	s_cselect_b32 s5, s24, s5
	s_cselect_b32 s1, s36, s1
	s_add_co_i32 s24, s5, 1
	s_wait_kmcnt 0x0
	v_mul_lo_u32 v26, v24, s26
	s_cmp_ge_u32 s1, s39
	s_clause 0x1
	s_load_b64 s[36:37], s[2:3], 0xa8
	s_load_b64 s[50:51], s[2:3], 0xc8
	s_cselect_b32 s1, s24, s5
	s_mul_i32 s24, s49, s34
	s_xor_b32 s1, s1, s4
	s_sub_co_i32 s0, s0, s24
	s_sub_co_i32 s1, s1, s4
	v_lshlrev_b32_e32 v0, 3, v21
	s_mul_i32 s4, s1, s27
	s_mul_i32 s48, s1, s23
	v_add_nc_u32_e32 v28, s26, v26
	s_ashr_i32 s5, s4, 31
	s_ashr_i32 s49, s48, 31
	s_sub_co_i32 s1, s0, s34
	s_cmp_ge_u32 s0, s34
	v_dual_add_nc_u32 v32, s26, v28 :: v_dual_bitop2_b32 v2, 7, v21 bitop3:0x40
	s_cselect_b32 s0, s1, s0
	v_dual_mov_b32 v25, v31 :: v_dual_add_nc_u32 v36, s38, v24
	s_sub_co_i32 s1, s0, s34
	s_cmp_ge_u32 s0, s34
	v_dual_add_nc_u32 v34, s26, v32 :: v_dual_ashrrev_i32 v27, 31, v26
	s_cselect_b32 s0, s1, s0
	v_pk_mul_f16 v115, v3, s52
	s_xor_b32 s0, s0, s31
	s_delay_alu instid0(VALU_DEP_2)
	v_dual_add_nc_u32 v38, s26, v34 :: v_dual_ashrrev_i32 v37, 31, v36
	s_sub_co_i32 s0, s0, s31
	s_mul_u64 s[20:21], s[20:21], s[30:31]
	s_ashr_i32 s1, s0, 31
	s_mul_i32 s34, s35, s40
	s_wait_kmcnt 0x0
	s_mul_u64 s[0:1], s[50:51], s[0:1]
	v_dual_lshrrev_b32 v3, 3, v21 :: v_dual_bitop2_b32 v0, 56, v0 bitop3:0x40
	v_dual_ashrrev_i32 v29, 31, v28 :: v_dual_add_nc_u32 v40, s26, v38
	s_add_nc_u64 s[6:7], s[6:7], s[20:21]
	s_mul_u64 s[20:21], s[36:37], s[30:31]
	s_add_nc_u64 s[0:1], s[10:11], s[0:1]
	s_ashr_i32 s35, s34, 31
	s_add_nc_u64 s[8:9], s[8:9], s[20:21]
	s_add_nc_u64 s[0:1], s[0:1], s[34:35]
	s_lshl_b32 s24, s44, 1
	v_pk_mul_f16 v114, v4, s52
	v_dual_ashrrev_i32 v39, 31, v38 :: v_dual_add_nc_u32 v42, s26, v40
	v_dual_ashrrev_i32 v41, 31, v40 :: v_dual_add_nc_u32 v4, v1, v3
	s_add_nc_u64 s[8:9], s[8:9], s[48:49]
	s_add_nc_u64 s[20:21], s[0:1], s[24:25]
	s_mul_i32 s24, s22, s44
	s_add_nc_u64 s[0:1], s[6:7], s[4:5]
	s_add_nc_u64 s[34:35], s[8:9], s[24:25]
	s_mul_i32 s24, s26, s44
	v_pk_mul_f16 v118, v5, s52
	s_add_nc_u64 s[36:37], s[0:1], s[24:25]
	v_cmp_eq_u32_e64 s0, 0, v2
	v_cmp_eq_u32_e64 s1, 1, v2
	;; [unrolled: 1-line block ×6, first 2 shown]
	v_dual_ashrrev_i32 v43, 31, v42 :: v_dual_bitop2_b32 v1, v1, v3 bitop3:0x54
	v_cmp_eq_u32_e64 s8, 6, v2
	v_dual_add_nc_u32 v44, s26, v42 :: v_dual_add_nc_u32 v3, 4, v4
	v_add_nc_u32_e32 v5, 8, v4
	v_cmp_eq_u32_e64 s9, 7, v2
	v_add_nc_u32_e32 v2, 12, v4
	v_pk_mul_f16 v116, v6, s52
	v_mul_lo_u32 v48, v3, s22
	v_mul_lo_u32 v50, v5, s22
	v_dual_add_nc_u32 v5, 20, v4 :: v_dual_bitop2_b32 v3, 16, v1 bitop3:0x54
	v_mul_lo_u32 v52, v2, s22
	v_dual_add_nc_u32 v2, 24, v4 :: v_dual_add_nc_u32 v6, 28, v4
	v_mul_lo_u32 v46, v1, s22
	s_delay_alu instid0(VALU_DEP_4) | instskip(SKIP_1) | instid1(VALU_DEP_4)
	v_mul_lo_u32 v54, v3, s22
	v_mul_lo_u32 v56, v5, s22
	;; [unrolled: 1-line block ×4, first 2 shown]
	s_cmp_lg_u64 s[10:11], 0
	v_dual_lshlrev_b32 v30, 1, v0 :: v_dual_lshlrev_b32 v82, 1, v1
	v_dual_mov_b32 v3, v31 :: v_dual_bitop2_b32 v0, 24, v80 bitop3:0x40
	s_cselect_b32 s24, -1, 0
	s_ashr_i32 s39, s38, 31
	v_pk_mul_f16 v104, v13, s52
	v_add_nc_u64_e32 v[64:65], s[38:39], v[24:25]
	v_pk_mul_f16 v105, v14, s52
	v_pk_mul_f16 v106, v15, s52
	;; [unrolled: 1-line block ×9, first 2 shown]
	v_dual_ashrrev_i32 v33, 31, v32 :: v_dual_ashrrev_i32 v35, 31, v34
	v_dual_ashrrev_i32 v45, 31, v44 :: v_dual_ashrrev_i32 v47, 31, v46
	v_dual_lshlrev_b32 v83, 1, v4 :: v_dual_ashrrev_i32 v51, 31, v50
	v_dual_ashrrev_i32 v49, 31, v48 :: v_dual_ashrrev_i32 v55, 31, v54
	v_dual_ashrrev_i32 v53, 31, v52 :: v_dual_ashrrev_i32 v59, 31, v58
	v_dual_ashrrev_i32 v57, 31, v56 :: v_dual_mov_b32 v63, v31
	v_dual_mov_b32 v2, v31 :: v_dual_ashrrev_i32 v61, 31, v60
	v_dual_mov_b32 v1, v31 :: v_dual_lshlrev_b32 v62, 2, v20
	v_dual_add_nc_u32 v84, 8, v0 :: v_dual_mov_b32 v0, v31
	v_dual_mov_b32 v7, v31 :: v_dual_mov_b32 v6, v31
	v_dual_mov_b32 v5, v31 :: v_dual_mov_b32 v4, v31
	;; [unrolled: 1-line block ×8, first 2 shown]
	v_xor_b32_e32 v85, 4, v80
	v_xor_b32_e32 v86, 2, v80
	;; [unrolled: 1-line block ×3, first 2 shown]
	v_mov_b32_e32 v87, 0xfeffffff
	s_add_nc_u64 s[10:11], s[2:3], 0xd0
	s_and_b32 s23, s24, s45
	s_and_b32 s27, s24, s46
.LBB19_15:                              ; =>This Inner Loop Header: Depth=1
	v_add_nc_u64_e32 v[68:69], s[36:37], v[62:63]
	v_cmp_lt_i32_e32 vcc_lo, v85, v84
	v_dual_mov_b32 v92, 0 :: v_dual_cndmask_b32 v72, v80, v85, vcc_lo
	s_delay_alu instid0(VALU_DEP_3) | instskip(SKIP_1) | instid1(VALU_DEP_3)
	v_add_nc_u64_e32 v[70:71], v[68:69], v[26:27]
	v_cmp_lt_i32_e32 vcc_lo, v86, v84
	v_dual_lshlrev_b32 v99, 2, v72 :: v_dual_cndmask_b32 v73, v80, v86, vcc_lo
	global_load_b128 v[16:19], v[70:71], off
	s_wait_loadcnt 0x0
	;;#ASMSTART
	v_dot2_f32_f16 v92, v16, v112, v92
	;;#ASMEND
	;;#ASMSTART
	v_dot2_f32_f16 v92, v17, v113, v92
	;;#ASMEND
	;; [unrolled: 3-line block ×4, first 2 shown]
	global_load_b128 v[88:91], v[70:71], off offset:128
	s_wait_loadcnt 0x0
	;;#ASMSTART
	v_dot2_f32_f16 v92, v88, v116, v92
	;;#ASMEND
	;;#ASMSTART
	v_dot2_f32_f16 v92, v89, v117, v92
	;;#ASMEND
	;; [unrolled: 3-line block ×4, first 2 shown]
	ds_bpermute_b32 v72, v99, v92
	v_lshlrev_b32_e32 v100, 2, v73
	v_cmp_lt_i32_e32 vcc_lo, v25, v84
	v_cndmask_b32_e32 v88, v80, v25, vcc_lo
	s_and_b32 vcc_lo, exec_lo, s23
	s_wait_dscnt 0x0
	v_add_f32_e32 v72, v92, v72
	ds_bpermute_b32 v73, v100, v72
	s_wait_dscnt 0x0
	v_dual_lshlrev_b32 v102, 2, v88 :: v_dual_add_f32 v72, v72, v73
	ds_bpermute_b32 v73, v102, v72
	s_wait_dscnt 0x0
	v_add_f32_e32 v88, v72, v73
	s_cbranch_vccz .LBB19_17
; %bb.16:                               ;   in Loop: Header=BB19_15 Depth=1
	global_load_u16 v72, v24, s[20:21] scale_offset
	s_wait_loadcnt 0x0
	v_fma_mix_f32 v88, v81, v72, v88 op_sel_hi:[0,1,0]
.LBB19_17:                              ;   in Loop: Header=BB19_15 Depth=1
	v_mov_b32_e32 v72, 0
	;;#ASMSTART
	v_dot2_f32_f16 v72, v16, v104, v72
	;;#ASMEND
	;;#ASMSTART
	v_dot2_f32_f16 v72, v17, v105, v72
	;;#ASMEND
	;; [unrolled: 3-line block ×4, first 2 shown]
	global_load_b128 v[16:19], v[70:71], off offset:128
	s_wait_loadcnt 0x0
	;;#ASMSTART
	v_dot2_f32_f16 v72, v16, v108, v72
	;;#ASMEND
	;;#ASMSTART
	v_dot2_f32_f16 v72, v17, v109, v72
	;;#ASMEND
	;;#ASMSTART
	v_dot2_f32_f16 v72, v18, v110, v72
	;;#ASMEND
	;;#ASMSTART
	v_dot2_f32_f16 v72, v19, v111, v72
	;;#ASMEND
	ds_bpermute_b32 v16, v99, v72
	s_and_not1_b32 vcc_lo, exec_lo, s27
	s_wait_dscnt 0x0
	v_add_f32_e32 v16, v72, v16
	ds_bpermute_b32 v17, v100, v16
	s_wait_dscnt 0x0
	v_add_f32_e32 v16, v16, v17
	ds_bpermute_b32 v17, v102, v16
	s_wait_dscnt 0x0
	v_add_f32_e32 v89, v16, v17
	s_cbranch_vccnz .LBB19_19
; %bb.18:                               ;   in Loop: Header=BB19_15 Depth=1
	v_lshl_add_u64 v[16:17], v[36:37], 1, s[20:21]
	global_load_u16 v16, v[16:17], off
	s_wait_loadcnt 0x0
	v_fma_mix_f32 v89, v81, v16, v89 op_sel_hi:[0,1,0]
.LBB19_19:                              ;   in Loop: Header=BB19_15 Depth=1
	v_add_nc_u64_e32 v[70:71], v[68:69], v[28:29]
	v_mov_b32_e32 v73, 0
	s_and_not1_b32 vcc_lo, exec_lo, s23
	global_load_b128 v[16:19], v[70:71], off
	s_wait_loadcnt 0x0
	;;#ASMSTART
	v_dot2_f32_f16 v73, v16, v112, v73
	;;#ASMEND
	;;#ASMSTART
	v_dot2_f32_f16 v73, v17, v113, v73
	;;#ASMEND
	;; [unrolled: 3-line block ×4, first 2 shown]
	global_load_b128 v[90:93], v[70:71], off offset:128
	s_wait_loadcnt 0x0
	;;#ASMSTART
	v_dot2_f32_f16 v73, v90, v116, v73
	;;#ASMEND
	;;#ASMSTART
	v_dot2_f32_f16 v73, v91, v117, v73
	;;#ASMEND
	;; [unrolled: 3-line block ×4, first 2 shown]
	ds_bpermute_b32 v72, v99, v73
	s_wait_dscnt 0x0
	v_add_f32_e32 v72, v73, v72
	ds_bpermute_b32 v73, v100, v72
	s_wait_dscnt 0x0
	v_add_f32_e32 v72, v72, v73
	;; [unrolled: 3-line block ×3, first 2 shown]
	s_cbranch_vccnz .LBB19_21
; %bb.20:                               ;   in Loop: Header=BB19_15 Depth=1
	global_load_u16 v72, v24, s[20:21] offset:2 scale_offset
	s_wait_loadcnt 0x0
	v_fma_mix_f32 v90, v81, v72, v90 op_sel_hi:[0,1,0]
.LBB19_21:                              ;   in Loop: Header=BB19_15 Depth=1
	v_mov_b32_e32 v72, 0
	;;#ASMSTART
	v_dot2_f32_f16 v72, v16, v104, v72
	;;#ASMEND
	;;#ASMSTART
	v_dot2_f32_f16 v72, v17, v105, v72
	;;#ASMEND
	;; [unrolled: 3-line block ×4, first 2 shown]
	global_load_b128 v[16:19], v[70:71], off offset:128
	s_wait_loadcnt 0x0
	;;#ASMSTART
	v_dot2_f32_f16 v72, v16, v108, v72
	;;#ASMEND
	;;#ASMSTART
	v_dot2_f32_f16 v72, v17, v109, v72
	;;#ASMEND
	;; [unrolled: 3-line block ×4, first 2 shown]
	ds_bpermute_b32 v16, v99, v72
	v_lshl_add_u64 v[70:71], v[64:65], 1, s[20:21]
	s_and_not1_b32 vcc_lo, exec_lo, s27
	s_wait_dscnt 0x0
	v_add_f32_e32 v16, v72, v16
	ds_bpermute_b32 v17, v100, v16
	s_wait_dscnt 0x0
	v_add_f32_e32 v16, v16, v17
	ds_bpermute_b32 v17, v102, v16
	s_wait_dscnt 0x0
	v_add_f32_e32 v91, v16, v17
	s_cbranch_vccnz .LBB19_23
; %bb.22:                               ;   in Loop: Header=BB19_15 Depth=1
	global_load_u16 v16, v[70:71], off offset:2
	s_wait_loadcnt 0x0
	v_fma_mix_f32 v91, v81, v16, v91 op_sel_hi:[0,1,0]
.LBB19_23:                              ;   in Loop: Header=BB19_15 Depth=1
	v_add_nc_u64_e32 v[72:73], v[68:69], v[32:33]
	v_mov_b32_e32 v96, 0
	s_and_not1_b32 vcc_lo, exec_lo, s23
	global_load_b128 v[16:19], v[72:73], off
	s_wait_loadcnt 0x0
	;;#ASMSTART
	v_dot2_f32_f16 v96, v16, v112, v96
	;;#ASMEND
	;;#ASMSTART
	v_dot2_f32_f16 v96, v17, v113, v96
	;;#ASMEND
	;; [unrolled: 3-line block ×4, first 2 shown]
	global_load_b128 v[92:95], v[72:73], off offset:128
	s_wait_loadcnt 0x0
	;;#ASMSTART
	v_dot2_f32_f16 v96, v92, v116, v96
	;;#ASMEND
	;;#ASMSTART
	v_dot2_f32_f16 v96, v93, v117, v96
	;;#ASMEND
	;; [unrolled: 3-line block ×4, first 2 shown]
	ds_bpermute_b32 v92, v99, v96
	s_wait_dscnt 0x0
	v_add_f32_e32 v92, v96, v92
	ds_bpermute_b32 v93, v100, v92
	s_wait_dscnt 0x0
	v_add_f32_e32 v92, v92, v93
	;; [unrolled: 3-line block ×3, first 2 shown]
	s_cbranch_vccnz .LBB19_25
; %bb.24:                               ;   in Loop: Header=BB19_15 Depth=1
	global_load_u16 v93, v24, s[20:21] offset:4 scale_offset
	s_wait_loadcnt 0x0
	v_fma_mix_f32 v92, v81, v93, v92 op_sel_hi:[0,1,0]
.LBB19_25:                              ;   in Loop: Header=BB19_15 Depth=1
	v_mov_b32_e32 v93, 0
	;;#ASMSTART
	v_dot2_f32_f16 v93, v16, v104, v93
	;;#ASMEND
	;;#ASMSTART
	v_dot2_f32_f16 v93, v17, v105, v93
	;;#ASMEND
	;; [unrolled: 3-line block ×4, first 2 shown]
	global_load_b128 v[16:19], v[72:73], off offset:128
	s_wait_loadcnt 0x0
	;;#ASMSTART
	v_dot2_f32_f16 v93, v16, v108, v93
	;;#ASMEND
	;;#ASMSTART
	v_dot2_f32_f16 v93, v17, v109, v93
	;;#ASMEND
	;; [unrolled: 3-line block ×4, first 2 shown]
	ds_bpermute_b32 v16, v99, v93
	s_and_not1_b32 vcc_lo, exec_lo, s27
	s_wait_dscnt 0x0
	v_add_f32_e32 v16, v93, v16
	ds_bpermute_b32 v17, v100, v16
	s_wait_dscnt 0x0
	v_add_f32_e32 v16, v16, v17
	ds_bpermute_b32 v17, v102, v16
	s_wait_dscnt 0x0
	v_add_f32_e32 v93, v16, v17
	s_cbranch_vccnz .LBB19_27
; %bb.26:                               ;   in Loop: Header=BB19_15 Depth=1
	global_load_u16 v16, v[70:71], off offset:4
	s_wait_loadcnt 0x0
	v_fma_mix_f32 v93, v81, v16, v93 op_sel_hi:[0,1,0]
.LBB19_27:                              ;   in Loop: Header=BB19_15 Depth=1
	v_add_nc_u64_e32 v[72:73], v[68:69], v[34:35]
	v_mov_b32_e32 v98, 0
	s_and_not1_b32 vcc_lo, exec_lo, s23
	global_load_b128 v[16:19], v[72:73], off
	s_wait_loadcnt 0x0
	;;#ASMSTART
	v_dot2_f32_f16 v98, v16, v112, v98
	;;#ASMEND
	;;#ASMSTART
	v_dot2_f32_f16 v98, v17, v113, v98
	;;#ASMEND
	;; [unrolled: 3-line block ×4, first 2 shown]
	global_load_b128 v[94:97], v[72:73], off offset:128
	s_wait_loadcnt 0x0
	;;#ASMSTART
	v_dot2_f32_f16 v98, v94, v116, v98
	;;#ASMEND
	;;#ASMSTART
	v_dot2_f32_f16 v98, v95, v117, v98
	;;#ASMEND
	;; [unrolled: 3-line block ×4, first 2 shown]
	ds_bpermute_b32 v94, v99, v98
	s_wait_dscnt 0x0
	v_add_f32_e32 v94, v98, v94
	ds_bpermute_b32 v95, v100, v94
	s_wait_dscnt 0x0
	v_add_f32_e32 v94, v94, v95
	;; [unrolled: 3-line block ×3, first 2 shown]
	s_cbranch_vccnz .LBB19_29
; %bb.28:                               ;   in Loop: Header=BB19_15 Depth=1
	global_load_u16 v95, v24, s[20:21] offset:6 scale_offset
	s_wait_loadcnt 0x0
	v_fma_mix_f32 v94, v81, v95, v94 op_sel_hi:[0,1,0]
.LBB19_29:                              ;   in Loop: Header=BB19_15 Depth=1
	v_mov_b32_e32 v95, 0
	;;#ASMSTART
	v_dot2_f32_f16 v95, v16, v104, v95
	;;#ASMEND
	;;#ASMSTART
	v_dot2_f32_f16 v95, v17, v105, v95
	;;#ASMEND
	;; [unrolled: 3-line block ×4, first 2 shown]
	global_load_b128 v[16:19], v[72:73], off offset:128
	s_wait_loadcnt 0x0
	;;#ASMSTART
	v_dot2_f32_f16 v95, v16, v108, v95
	;;#ASMEND
	;;#ASMSTART
	v_dot2_f32_f16 v95, v17, v109, v95
	;;#ASMEND
	;; [unrolled: 3-line block ×4, first 2 shown]
	ds_bpermute_b32 v16, v99, v95
	s_and_not1_b32 vcc_lo, exec_lo, s27
	s_wait_dscnt 0x0
	v_add_f32_e32 v16, v95, v16
	ds_bpermute_b32 v17, v100, v16
	s_wait_dscnt 0x0
	v_add_f32_e32 v16, v16, v17
	ds_bpermute_b32 v17, v102, v16
	s_wait_dscnt 0x0
	v_add_f32_e32 v95, v16, v17
	s_cbranch_vccnz .LBB19_31
; %bb.30:                               ;   in Loop: Header=BB19_15 Depth=1
	global_load_u16 v16, v[70:71], off offset:6
	s_wait_loadcnt 0x0
	v_fma_mix_f32 v95, v81, v16, v95 op_sel_hi:[0,1,0]
.LBB19_31:                              ;   in Loop: Header=BB19_15 Depth=1
	v_add_nc_u64_e32 v[72:73], v[68:69], v[38:39]
	v_mov_b32_e32 v97, 0
	s_and_not1_b32 vcc_lo, exec_lo, s23
	global_load_b128 v[16:19], v[72:73], off
	s_wait_loadcnt 0x0
	;;#ASMSTART
	v_dot2_f32_f16 v97, v16, v112, v97
	;;#ASMEND
	;;#ASMSTART
	v_dot2_f32_f16 v97, v17, v113, v97
	;;#ASMEND
	;; [unrolled: 3-line block ×4, first 2 shown]
	global_load_b128 v[120:123], v[72:73], off offset:128
	s_wait_loadcnt 0x0
	;;#ASMSTART
	v_dot2_f32_f16 v97, v120, v116, v97
	;;#ASMEND
	;;#ASMSTART
	v_dot2_f32_f16 v97, v121, v117, v97
	;;#ASMEND
	;;#ASMSTART
	v_dot2_f32_f16 v97, v122, v118, v97
	;;#ASMEND
	;;#ASMSTART
	v_dot2_f32_f16 v97, v123, v119, v97
	;;#ASMEND
	ds_bpermute_b32 v96, v99, v97
	s_wait_dscnt 0x0
	v_add_f32_e32 v96, v97, v96
	ds_bpermute_b32 v97, v100, v96
	s_wait_dscnt 0x0
	v_add_f32_e32 v96, v96, v97
	;; [unrolled: 3-line block ×3, first 2 shown]
	s_cbranch_vccnz .LBB19_33
; %bb.32:                               ;   in Loop: Header=BB19_15 Depth=1
	global_load_u16 v97, v24, s[20:21] offset:8 scale_offset
	s_wait_loadcnt 0x0
	v_fma_mix_f32 v96, v81, v97, v96 op_sel_hi:[0,1,0]
.LBB19_33:                              ;   in Loop: Header=BB19_15 Depth=1
	v_mov_b32_e32 v97, 0
	;;#ASMSTART
	v_dot2_f32_f16 v97, v16, v104, v97
	;;#ASMEND
	;;#ASMSTART
	v_dot2_f32_f16 v97, v17, v105, v97
	;;#ASMEND
	;; [unrolled: 3-line block ×4, first 2 shown]
	global_load_b128 v[16:19], v[72:73], off offset:128
	s_wait_loadcnt 0x0
	;;#ASMSTART
	v_dot2_f32_f16 v97, v16, v108, v97
	;;#ASMEND
	;;#ASMSTART
	v_dot2_f32_f16 v97, v17, v109, v97
	;;#ASMEND
	;; [unrolled: 3-line block ×4, first 2 shown]
	ds_bpermute_b32 v16, v99, v97
	s_and_not1_b32 vcc_lo, exec_lo, s27
	s_wait_dscnt 0x0
	v_add_f32_e32 v16, v97, v16
	ds_bpermute_b32 v17, v100, v16
	s_wait_dscnt 0x0
	v_add_f32_e32 v16, v16, v17
	ds_bpermute_b32 v17, v102, v16
	s_wait_dscnt 0x0
	v_add_f32_e32 v98, v16, v17
	s_cbranch_vccnz .LBB19_35
; %bb.34:                               ;   in Loop: Header=BB19_15 Depth=1
	global_load_u16 v16, v[70:71], off offset:8
	s_wait_loadcnt 0x0
	v_fma_mix_f32 v98, v81, v16, v98 op_sel_hi:[0,1,0]
.LBB19_35:                              ;   in Loop: Header=BB19_15 Depth=1
	v_add_nc_u64_e32 v[72:73], v[68:69], v[40:41]
	v_mov_b32_e32 v101, 0
	s_and_not1_b32 vcc_lo, exec_lo, s23
	global_load_b128 v[16:19], v[72:73], off
	s_wait_loadcnt 0x0
	;;#ASMSTART
	v_dot2_f32_f16 v101, v16, v112, v101
	;;#ASMEND
	;;#ASMSTART
	v_dot2_f32_f16 v101, v17, v113, v101
	;;#ASMEND
	;; [unrolled: 3-line block ×4, first 2 shown]
	global_load_b128 v[120:123], v[72:73], off offset:128
	s_wait_loadcnt 0x0
	;;#ASMSTART
	v_dot2_f32_f16 v101, v120, v116, v101
	;;#ASMEND
	;;#ASMSTART
	v_dot2_f32_f16 v101, v121, v117, v101
	;;#ASMEND
	;; [unrolled: 3-line block ×4, first 2 shown]
	ds_bpermute_b32 v97, v99, v101
	s_wait_dscnt 0x0
	v_add_f32_e32 v97, v101, v97
	ds_bpermute_b32 v101, v100, v97
	s_wait_dscnt 0x0
	v_add_f32_e32 v97, v97, v101
	;; [unrolled: 3-line block ×3, first 2 shown]
	s_cbranch_vccnz .LBB19_37
; %bb.36:                               ;   in Loop: Header=BB19_15 Depth=1
	global_load_u16 v101, v24, s[20:21] offset:10 scale_offset
	s_wait_loadcnt 0x0
	v_fma_mix_f32 v97, v81, v101, v97 op_sel_hi:[0,1,0]
.LBB19_37:                              ;   in Loop: Header=BB19_15 Depth=1
	v_mov_b32_e32 v101, 0
	;;#ASMSTART
	v_dot2_f32_f16 v101, v16, v104, v101
	;;#ASMEND
	;;#ASMSTART
	v_dot2_f32_f16 v101, v17, v105, v101
	;;#ASMEND
	;; [unrolled: 3-line block ×4, first 2 shown]
	global_load_b128 v[16:19], v[72:73], off offset:128
	s_wait_loadcnt 0x0
	;;#ASMSTART
	v_dot2_f32_f16 v101, v16, v108, v101
	;;#ASMEND
	;;#ASMSTART
	v_dot2_f32_f16 v101, v17, v109, v101
	;;#ASMEND
	;; [unrolled: 3-line block ×4, first 2 shown]
	ds_bpermute_b32 v16, v99, v101
	s_and_not1_b32 vcc_lo, exec_lo, s27
	s_wait_dscnt 0x0
	v_add_f32_e32 v16, v101, v16
	ds_bpermute_b32 v17, v100, v16
	s_wait_dscnt 0x0
	v_add_f32_e32 v16, v16, v17
	ds_bpermute_b32 v17, v102, v16
	s_wait_dscnt 0x0
	v_add_f32_e32 v101, v16, v17
	s_cbranch_vccnz .LBB19_39
; %bb.38:                               ;   in Loop: Header=BB19_15 Depth=1
	global_load_u16 v16, v[70:71], off offset:10
	s_wait_loadcnt 0x0
	v_fma_mix_f32 v101, v81, v16, v101 op_sel_hi:[0,1,0]
.LBB19_39:                              ;   in Loop: Header=BB19_15 Depth=1
	v_add_nc_u64_e32 v[72:73], v[68:69], v[42:43]
	v_mov_b32_e32 v124, 0
	s_and_not1_b32 vcc_lo, exec_lo, s23
	global_load_b128 v[16:19], v[72:73], off
	s_wait_loadcnt 0x0
	;;#ASMSTART
	v_dot2_f32_f16 v124, v16, v112, v124
	;;#ASMEND
	;;#ASMSTART
	v_dot2_f32_f16 v124, v17, v113, v124
	;;#ASMEND
	;;#ASMSTART
	v_dot2_f32_f16 v124, v18, v114, v124
	;;#ASMEND
	;;#ASMSTART
	v_dot2_f32_f16 v124, v19, v115, v124
	;;#ASMEND
	global_load_b128 v[120:123], v[72:73], off offset:128
	s_wait_loadcnt 0x0
	;;#ASMSTART
	v_dot2_f32_f16 v124, v120, v116, v124
	;;#ASMEND
	;;#ASMSTART
	v_dot2_f32_f16 v124, v121, v117, v124
	;;#ASMEND
	;; [unrolled: 3-line block ×4, first 2 shown]
	ds_bpermute_b32 v103, v99, v124
	s_wait_dscnt 0x0
	v_add_f32_e32 v103, v124, v103
	ds_bpermute_b32 v120, v100, v103
	s_wait_dscnt 0x0
	v_add_f32_e32 v103, v103, v120
	;; [unrolled: 3-line block ×3, first 2 shown]
	s_cbranch_vccnz .LBB19_41
; %bb.40:                               ;   in Loop: Header=BB19_15 Depth=1
	global_load_u16 v120, v24, s[20:21] offset:12 scale_offset
	s_wait_loadcnt 0x0
	v_fma_mix_f32 v103, v81, v120, v103 op_sel_hi:[0,1,0]
.LBB19_41:                              ;   in Loop: Header=BB19_15 Depth=1
	v_mov_b32_e32 v120, 0
	;;#ASMSTART
	v_dot2_f32_f16 v120, v16, v104, v120
	;;#ASMEND
	;;#ASMSTART
	v_dot2_f32_f16 v120, v17, v105, v120
	;;#ASMEND
	;;#ASMSTART
	v_dot2_f32_f16 v120, v18, v106, v120
	;;#ASMEND
	;;#ASMSTART
	v_dot2_f32_f16 v120, v19, v107, v120
	;;#ASMEND
	global_load_b128 v[16:19], v[72:73], off offset:128
	s_wait_loadcnt 0x0
	;;#ASMSTART
	v_dot2_f32_f16 v120, v16, v108, v120
	;;#ASMEND
	;;#ASMSTART
	v_dot2_f32_f16 v120, v17, v109, v120
	;;#ASMEND
	;; [unrolled: 3-line block ×4, first 2 shown]
	ds_bpermute_b32 v16, v99, v120
	s_and_not1_b32 vcc_lo, exec_lo, s27
	s_wait_dscnt 0x0
	v_add_f32_e32 v16, v120, v16
	ds_bpermute_b32 v17, v100, v16
	s_wait_dscnt 0x0
	v_add_f32_e32 v16, v16, v17
	ds_bpermute_b32 v17, v102, v16
	s_wait_dscnt 0x0
	v_add_f32_e32 v72, v16, v17
	s_cbranch_vccnz .LBB19_43
; %bb.42:                               ;   in Loop: Header=BB19_15 Depth=1
	global_load_u16 v16, v[70:71], off offset:12
	s_wait_loadcnt 0x0
	v_fma_mix_f32 v72, v81, v16, v72 op_sel_hi:[0,1,0]
.LBB19_43:                              ;   in Loop: Header=BB19_15 Depth=1
	v_add_nc_u64_e32 v[68:69], v[68:69], v[44:45]
	v_mov_b32_e32 v124, 0
	s_and_not1_b32 vcc_lo, exec_lo, s23
	global_load_b128 v[16:19], v[68:69], off
	s_wait_loadcnt 0x0
	;;#ASMSTART
	v_dot2_f32_f16 v124, v16, v112, v124
	;;#ASMEND
	;;#ASMSTART
	v_dot2_f32_f16 v124, v17, v113, v124
	;;#ASMEND
	;; [unrolled: 3-line block ×4, first 2 shown]
	global_load_b128 v[120:123], v[68:69], off offset:128
	s_wait_loadcnt 0x0
	;;#ASMSTART
	v_dot2_f32_f16 v124, v120, v116, v124
	;;#ASMEND
	;;#ASMSTART
	v_dot2_f32_f16 v124, v121, v117, v124
	;;#ASMEND
	;; [unrolled: 3-line block ×4, first 2 shown]
	ds_bpermute_b32 v73, v99, v124
	s_wait_dscnt 0x0
	v_add_f32_e32 v73, v124, v73
	ds_bpermute_b32 v120, v100, v73
	s_wait_dscnt 0x0
	v_add_f32_e32 v73, v73, v120
	;; [unrolled: 3-line block ×3, first 2 shown]
	s_cbranch_vccnz .LBB19_45
; %bb.44:                               ;   in Loop: Header=BB19_15 Depth=1
	global_load_u16 v120, v24, s[20:21] offset:14 scale_offset
	s_wait_loadcnt 0x0
	v_fma_mix_f32 v73, v81, v120, v73 op_sel_hi:[0,1,0]
.LBB19_45:                              ;   in Loop: Header=BB19_15 Depth=1
	v_mov_b32_e32 v120, 0
	;;#ASMSTART
	v_dot2_f32_f16 v120, v16, v104, v120
	;;#ASMEND
	;;#ASMSTART
	v_dot2_f32_f16 v120, v17, v105, v120
	;;#ASMEND
	;;#ASMSTART
	v_dot2_f32_f16 v120, v18, v106, v120
	;;#ASMEND
	;;#ASMSTART
	v_dot2_f32_f16 v120, v19, v107, v120
	;;#ASMEND
	global_load_b128 v[16:19], v[68:69], off offset:128
	s_wait_loadcnt 0x0
	;;#ASMSTART
	v_dot2_f32_f16 v120, v16, v108, v120
	;;#ASMEND
	;;#ASMSTART
	v_dot2_f32_f16 v120, v17, v109, v120
	;;#ASMEND
	;; [unrolled: 3-line block ×4, first 2 shown]
	ds_bpermute_b32 v16, v99, v120
	s_and_not1_b32 vcc_lo, exec_lo, s27
	s_wait_dscnt 0x0
	v_add_f32_e32 v16, v120, v16
	ds_bpermute_b32 v17, v100, v16
	s_wait_dscnt 0x0
	v_add_f32_e32 v16, v16, v17
	ds_bpermute_b32 v17, v102, v16
	s_wait_dscnt 0x0
	v_add_f32_e32 v18, v16, v17
	s_cbranch_vccnz .LBB19_47
; %bb.46:                               ;   in Loop: Header=BB19_15 Depth=1
	global_load_u16 v16, v[70:71], off offset:14
	s_wait_loadcnt 0x0
	v_fma_mix_f32 v18, v81, v16, v18 op_sel_hi:[0,1,0]
.LBB19_47:                              ;   in Loop: Header=BB19_15 Depth=1
	v_add_nc_u64_e32 v[16:17], s[34:35], v[46:47]
	v_add_nc_u64_e32 v[124:125], s[34:35], v[48:49]
	;; [unrolled: 1-line block ×9, first 2 shown]
	v_dual_add_f32 v19, 0x40051340, v88 :: v_dual_add_f32 v102, 0x40051340, v94
	v_dual_add_f32 v99, 0x40051340, v90 :: v_dual_add_f32 v100, 0x40051340, v92
	v_xor_b32_e32 v183, 8, v80
	s_clause 0x1
	global_load_b128 v[68:71], v[16:17], off
	global_load_b128 v[120:123], v[16:17], off offset:128
	s_wait_xcnt 0x0
	v_add_nc_u64_e32 v[16:17], v[124:125], v[30:31]
	v_dual_add_f32 v184, 0x40051340, v89 :: v_dual_add_f32 v185, 0x40051340, v91
	v_dual_add_f32 v180, 0x40051340, v96 :: v_dual_add_f32 v181, 0x40051340, v97
	v_add_f32_e32 v186, 0x40051340, v93
	v_cmp_gt_i32_e32 vcc_lo, 32, v183
	s_clause 0x1
	global_load_b128 v[124:127], v[16:17], off
	global_load_b128 v[128:131], v[16:17], off offset:128
	s_wait_xcnt 0x0
	v_add_nc_u64_e32 v[16:17], v[132:133], v[30:31]
	v_add_f32_e32 v182, 0x40051340, v103
	v_cndmask_b32_e64 v66, v66, v88, s0
	s_load_b32 s24, s[10:11], 0x4
	s_mov_b32 s39, s25
	v_cndmask_b32_e64 v67, v67, v89, s0
	s_clause 0x1
	global_load_b128 v[132:135], v[16:17], off
	global_load_b128 v[136:139], v[16:17], off offset:128
	s_wait_xcnt 0x0
	v_add_nc_u64_e32 v[16:17], v[140:141], v[30:31]
	s_clause 0x1
	global_load_b128 v[140:143], v[16:17], off
	global_load_b128 v[144:147], v[16:17], off offset:128
	s_wait_xcnt 0x0
	v_add_nc_u64_e32 v[16:17], v[148:149], v[30:31]
	s_wait_kmcnt 0x0
	s_lshl_b32 s38, s24, 7
	s_clause 0x1
	global_load_b128 v[148:151], v[16:17], off
	global_load_b128 v[152:155], v[16:17], off offset:128
	s_wait_xcnt 0x0
	v_add_nc_u64_e32 v[16:17], v[156:157], v[30:31]
	s_mul_i32 s24, s38, s26
	s_add_co_i32 s44, s38, s44
	s_lshl_b64 s[46:47], s[38:39], 1
	s_add_nc_u64 s[36:37], s[36:37], s[24:25]
	s_mul_i32 s24, s38, s22
	s_add_nc_u64 s[20:21], s[20:21], s[46:47]
	s_clause 0x1
	global_load_b128 v[156:159], v[16:17], off
	global_load_b128 v[160:163], v[16:17], off offset:128
	s_wait_xcnt 0x0
	v_add_nc_u64_e32 v[16:17], v[164:165], v[30:31]
	s_cmp_ge_i32 s44, s43
	s_add_nc_u64 s[34:35], s[34:35], s[24:25]
	s_clause 0x1
	global_load_b128 v[164:167], v[16:17], off
	global_load_b128 v[168:171], v[16:17], off offset:128
	s_wait_xcnt 0x0
	v_add_nc_u64_e32 v[16:17], v[172:173], v[30:31]
	s_clause 0x1
	global_load_b128 v[172:175], v[16:17], off
	global_load_b128 v[176:179], v[16:17], off offset:128
	s_wait_xcnt 0x0
	v_max3_num_f32 v16, v8, v19, v99
	v_add_f32_e32 v17, 0x40051340, v95
	v_max3_num_f32 v19, v87, v184, v185
	v_dual_add_f32 v99, 0x40051340, v73 :: v_dual_add_f32 v184, 0x40051340, v98
	s_delay_alu instid0(VALU_DEP_4) | instskip(SKIP_1) | instid1(VALU_DEP_4)
	v_max3_num_f32 v16, v16, v100, v102
	v_add_f32_e32 v102, 0x40051340, v72
	v_max3_num_f32 v17, v19, v186, v17
	v_cndmask_b32_e32 v19, v80, v183, vcc_lo
	s_delay_alu instid0(VALU_DEP_4) | instskip(NEXT) | instid1(VALU_DEP_2)
	v_max3_num_f32 v16, v16, v180, v181
	v_dual_add_f32 v180, 0x40051340, v18 :: v_dual_lshlrev_b32 v19, 2, v19
	s_delay_alu instid0(VALU_DEP_2) | instskip(SKIP_3) | instid1(VALU_DEP_1)
	v_max3_num_f32 v16, v16, v182, v99
	ds_bpermute_b32 v99, v19, v16
	s_wait_dscnt 0x0
	v_dual_add_f32 v100, 0x40051340, v101 :: v_dual_max_num_f32 v99, v99, v99
	v_max3_num_f32 v17, v17, v184, v100
	v_xor_b32_e32 v100, 16, v80
	s_delay_alu instid0(VALU_DEP_2) | instskip(NEXT) | instid1(VALU_DEP_2)
	v_max3_num_f32 v17, v17, v102, v180
	v_cmp_gt_i32_e32 vcc_lo, 32, v100
	ds_bpermute_b32 v19, v19, v17
	v_cndmask_b32_e32 v88, v80, v100, vcc_lo
	s_delay_alu instid0(VALU_DEP_1) | instskip(NEXT) | instid1(VALU_DEP_1)
	v_dual_lshlrev_b32 v88, 2, v88 :: v_dual_cndmask_b32 v66, v66, v90, s1
	v_dual_max_num_f32 v16, v16, v99 :: v_dual_cndmask_b32 v66, v66, v92, s4
	v_cndmask_b32_e64 v67, v67, v91, s1
	ds_load_b32 v92, v76
	v_dual_cndmask_b32 v66, v66, v94, s5 :: v_dual_cndmask_b32 v67, v67, v93, s4
	s_wait_dscnt 0x1
	s_delay_alu instid0(VALU_DEP_1) | instskip(NEXT) | instid1(VALU_DEP_2)
	v_dual_max_num_f32 v19, v19, v19 :: v_dual_cndmask_b32 v66, v66, v96, s6
	v_cndmask_b32_e64 v67, v67, v95, s5
	s_delay_alu instid0(VALU_DEP_2)
	v_max_num_f32_e32 v17, v17, v19
	ds_bpermute_b32 v19, v88, v16
	v_dual_cndmask_b32 v66, v66, v97, s7 :: v_dual_cndmask_b32 v67, v67, v98, s6
	ds_bpermute_b32 v88, v88, v17
	v_dual_cndmask_b32 v66, v66, v103, s8 :: v_dual_cndmask_b32 v67, v67, v101, s7
	s_wait_dscnt 0x0
	v_dual_max_num_f32 v88, v88, v88 :: v_dual_max_num_f32 v19, v19, v19
	s_delay_alu instid0(VALU_DEP_1) | instskip(NEXT) | instid1(VALU_DEP_2)
	v_max_num_f32_e32 v17, v17, v88
	v_dual_cndmask_b32 v67, v67, v72, s8 :: v_dual_max_num_f32 v16, v16, v19
	s_delay_alu instid0(VALU_DEP_1) | instskip(NEXT) | instid1(VALU_DEP_1)
	v_dual_cndmask_b32 v19, v66, v73, s9 :: v_dual_cndmask_b32 v18, v67, v18, s9
	v_dual_sub_f32 v8, v8, v16 :: v_dual_sub_f32 v19, v19, v16
	s_delay_alu instid0(VALU_DEP_2) | instskip(NEXT) | instid1(VALU_DEP_2)
	v_dual_sub_f32 v72, v87, v17 :: v_dual_sub_f32 v67, v18, v17
	v_mul_f32_e32 v18, 0x3fb8aa3b, v8
	s_delay_alu instid0(VALU_DEP_2) | instskip(SKIP_1) | instid1(VALU_DEP_4)
	v_dual_mul_f32 v66, 0x3fb8aa3b, v19 :: v_dual_mul_f32 v73, 0x3fb8aa3b, v72
	v_cmp_ngt_f32_e32 vcc_lo, 0xc2ce8ed0, v8
	v_mul_f32_e32 v87, 0x3fb8aa3b, v67
	s_delay_alu instid0(VALU_DEP_4)
	v_fma_f32 v88, 0x3fb8aa3b, v8, -v18
	v_rndne_f32_e32 v89, v18
	v_fma_f32 v90, 0x3fb8aa3b, v19, -v66
	v_rndne_f32_e32 v91, v66
	v_fma_f32 v93, 0x3fb8aa3b, v72, -v73
	v_fma_f32 v95, 0x3fb8aa3b, v67, -v87
	v_rndne_f32_e32 v96, v87
	v_fmac_f32_e32 v88, 0x32a5705f, v8
	s_delay_alu instid0(VALU_DEP_4) | instskip(SKIP_1) | instid1(VALU_DEP_4)
	v_dual_sub_f32 v18, v18, v89 :: v_dual_fmac_f32 v93, 0x32a5705f, v72
	v_rndne_f32_e32 v94, v73
	v_dual_fmac_f32 v90, 0x32a5705f, v19 :: v_dual_sub_f32 v87, v87, v96
	v_sub_f32_e32 v66, v66, v91
	s_delay_alu instid0(VALU_DEP_4) | instskip(NEXT) | instid1(VALU_DEP_4)
	v_dual_fmac_f32 v95, 0x32a5705f, v67 :: v_dual_add_f32 v18, v18, v88
	v_sub_f32_e32 v73, v73, v94
	v_cvt_i32_f32_e32 v89, v89
	s_delay_alu instid0(VALU_DEP_3) | instskip(NEXT) | instid1(VALU_DEP_4)
	v_dual_add_f32 v66, v66, v90 :: v_dual_add_f32 v87, v87, v95
	v_exp_f32_e32 v18, v18
	s_delay_alu instid0(VALU_DEP_3) | instskip(SKIP_1) | instid1(VALU_DEP_3)
	v_add_f32_e32 v73, v73, v93
	v_cvt_i32_f32_e32 v88, v91
	v_exp_f32_e32 v66, v66
	v_exp_f32_e32 v87, v87
	v_cvt_i32_f32_e32 v90, v96
	v_exp_f32_e32 v73, v73
	v_ldexp_f32 v18, v18, v89
	v_cvt_i32_f32_e32 v91, v94
	s_delay_alu instid0(TRANS32_DEP_3) | instskip(NEXT) | instid1(TRANS32_DEP_2)
	v_ldexp_f32 v66, v66, v88
	v_ldexp_f32 v87, v87, v90
	s_delay_alu instid0(VALU_DEP_4)
	v_cndmask_b32_e32 v18, 0, v18, vcc_lo
	v_cmp_ngt_f32_e32 vcc_lo, 0xc2ce8ed0, v19
	v_ldexp_f32 v73, v73, v91
	v_cndmask_b32_e32 v66, 0, v66, vcc_lo
	v_cmp_ngt_f32_e32 vcc_lo, 0xc2ce8ed0, v67
	v_cndmask_b32_e32 v87, 0, v87, vcc_lo
	v_cmp_ngt_f32_e32 vcc_lo, 0xc2ce8ed0, v72
	v_cndmask_b32_e32 v73, 0, v73, vcc_lo
	v_cmp_nlt_f32_e32 vcc_lo, 0x42b17218, v8
	v_cndmask_b32_e32 v18, 0x7f800000, v18, vcc_lo
	v_cmp_nlt_f32_e32 vcc_lo, 0x42b17218, v19
	s_delay_alu instid0(VALU_DEP_2) | instskip(SKIP_2) | instid1(VALU_DEP_3)
	v_cvt_f16_f32_e32 v8, v18
	v_cndmask_b32_e32 v66, 0x7f800000, v66, vcc_lo
	v_cmp_nlt_f32_e32 vcc_lo, 0x42b17218, v67
	v_and_b32_e32 v8, 0xffff, v8
	v_cndmask_b32_e32 v67, 0x7f800000, v87, vcc_lo
	v_cmp_nlt_f32_e32 vcc_lo, 0x42b17218, v72
	v_cvt_f16_f32_e32 v72, v66
	s_delay_alu instid0(VALU_DEP_4)
	v_mul_u32_u24_e32 v8, 0x10001, v8
	v_cndmask_b32_e32 v19, 0x7f800000, v73, vcc_lo
	v_cvt_f16_f32_e32 v73, v67
	ds_store_b16 v75, v72
	ds_store_b16 v75, v73 offset:256
	v_cvt_f16_f32_e32 v87, v19
	v_pk_fma_f32 v[22:23], v[22:23], v[18:19], v[66:67]
	v_pk_mul_f16 v88, v12, v8
	v_pk_mul_f16 v89, v13, v8
	;; [unrolled: 1-line block ×3, first 2 shown]
	v_and_b32_e32 v18, 0xffff, v87
	ds_load_u16 v19, v82
	ds_load_u16 v72, v82 offset:32
	ds_load_u16 v73, v82 offset:256
	;; [unrolled: 1-line block ×15, first 2 shown]
	v_pk_mul_f16 v91, v15, v8
	v_pk_mul_f16 v12, v92, v8
	v_mul_u32_u24_e32 v18, 0x10001, v18
	v_pk_mul_f16 v9, v9, v8
	v_pk_mul_f16 v10, v10, v8
	;; [unrolled: 1-line block ×3, first 2 shown]
	s_delay_alu instid0(VALU_DEP_4)
	v_pk_mul_f16 v4, v4, v18
	v_pk_mul_f16 v5, v5, v18
	;; [unrolled: 1-line block ×8, first 2 shown]
	s_wait_dscnt 0xf
	v_mul_u32_u24_e32 v11, 0x10001, v19
	s_wait_dscnt 0xd
	v_mul_u32_u24_e32 v13, 0x10001, v73
	;; [unrolled: 2-line block ×4, first 2 shown]
	v_mul_u32_u24_e32 v18, 0x10001, v93
	s_wait_dscnt 0x6
	v_mul_u32_u24_e32 v19, 0x10001, v98
	v_mul_u32_u24_e32 v73, 0x10001, v94
	s_wait_dscnt 0x5
	v_mul_u32_u24_e32 v87, 0x10001, v99
	v_mul_u32_u24_e32 v72, 0x10001, v72
	;; [unrolled: 1-line block ×4, first 2 shown]
	s_wait_dscnt 0x4
	v_mul_u32_u24_e32 v94, 0x10001, v100
	s_wait_dscnt 0x3
	v_mul_u32_u24_e32 v95, 0x10001, v101
	;; [unrolled: 2-line block ×4, first 2 shown]
	v_mul_u32_u24_e32 v98, 0x10001, v103
	s_wait_loadcnt 0xf
	v_pk_fma_f16 v12, v68, v11, v12
	v_pk_fma_f16 v4, v68, v13, v4
	v_pk_fma_f16 v9, v69, v11, v9
	v_pk_fma_f16 v5, v69, v13, v5
	v_pk_fma_f16 v10, v70, v11, v10
	v_pk_fma_f16 v6, v70, v13, v6
	v_pk_fma_f16 v8, v71, v11, v8
	v_pk_fma_f16 v7, v71, v13, v7
	s_wait_loadcnt 0xe
	v_pk_fma_f16 v68, v120, v11, v88
	v_pk_fma_f16 v0, v120, v13, v0
	v_pk_fma_f16 v69, v121, v11, v89
	v_pk_fma_f16 v1, v121, v13, v1
	v_pk_fma_f16 v70, v122, v11, v90
	v_pk_fma_f16 v2, v122, v13, v2
	v_pk_fma_f16 v11, v123, v11, v91
	v_pk_fma_f16 v3, v123, v13, v3
	;; [unrolled: 9-line block ×16, first 2 shown]
	ds_store_b128 v76, v[88:91] offset:16
	ds_store_b128 v76, v[8:11]
	ds_store_b128 v76, v[4:7] offset:32
	ds_store_b128 v76, v[12:15] offset:16
	;; [unrolled: 1-line block ×3, first 2 shown]
	s_cbranch_scc1 .LBB19_50
; %bb.48:                               ;   in Loop: Header=BB19_15 Depth=1
	v_dual_mov_b32 v8, v16 :: v_dual_mov_b32 v87, v17
	s_branch .LBB19_15
.LBB19_49:
	v_mov_b32_e32 v23, 0
	v_mov_b64_e32 v[16:17], 0xfefffffffeffffff
	s_delay_alu instid0(VALU_DEP_2)
	v_mov_b32_e32 v22, v23
.LBB19_50:
	s_cmp_lg_u64 s[12:13], 0
	v_cmp_gt_u32_e32 vcc_lo, 2, v77
	s_cselect_b32 s0, -1, 0
	s_cmp_eq_u32 s41, 0
	s_cselect_b32 s1, -1, 0
	s_delay_alu instid0(SALU_CYCLE_1) | instskip(NEXT) | instid1(SALU_CYCLE_1)
	s_and_b32 s0, s1, s0
	s_and_b32 s0, s0, vcc_lo
	s_delay_alu instid0(SALU_CYCLE_1)
	s_and_saveexec_b32 s1, s0
	s_cbranch_execz .LBB19_52
; %bb.51:
	v_cmp_eq_u32_e32 vcc_lo, 1, v77
	v_mov_b32_e32 v0, s33
	v_lshl_add_u32 v10, v77, 5, v76
	v_cndmask_b32_e32 v1, v16, v17, vcc_lo
	global_load_b32 v0, v0, s[12:13] scale_offset
	v_dual_cndmask_b32 v13, v22, v23 :: v_dual_max_num_f32 v2, v1, v1
	s_wait_loadcnt 0x0
	v_max_num_f32_e32 v3, v0, v0
	s_delay_alu instid0(VALU_DEP_1) | instskip(NEXT) | instid1(VALU_DEP_1)
	v_max_num_f32_e32 v8, v3, v2
	v_dual_sub_f32 v1, v1, v8 :: v_dual_sub_f32 v9, v0, v8
	s_delay_alu instid0(VALU_DEP_1) | instskip(NEXT) | instid1(VALU_DEP_2)
	v_mul_f32_e32 v0, 0x3fb8aa3b, v1
	v_mul_f32_e32 v2, 0x3fb8aa3b, v9
	v_cmp_ngt_f32_e64 s0, 0xc2ce8ed0, v1
	s_delay_alu instid0(VALU_DEP_3) | instskip(SKIP_1) | instid1(VALU_DEP_4)
	v_fma_f32 v3, 0x3fb8aa3b, v1, -v0
	v_rndne_f32_e32 v4, v0
	v_fma_f32 v5, 0x3fb8aa3b, v9, -v2
	v_rndne_f32_e32 v6, v2
	s_delay_alu instid0(VALU_DEP_3) | instskip(NEXT) | instid1(VALU_DEP_2)
	v_dual_fmac_f32 v3, 0x32a5705f, v1 :: v_dual_sub_f32 v0, v0, v4
	v_dual_fmac_f32 v5, 0x32a5705f, v9 :: v_dual_sub_f32 v2, v2, v6
	s_delay_alu instid0(VALU_DEP_2) | instskip(SKIP_2) | instid1(VALU_DEP_3)
	v_add_f32_e32 v0, v0, v3
	v_cvt_i32_f32_e32 v3, v4
	v_cvt_i32_f32_e32 v4, v6
	v_exp_f32_e32 v0, v0
	v_nop
	s_delay_alu instid0(TRANS32_DEP_1) | instskip(NEXT) | instid1(VALU_DEP_1)
	v_ldexp_f32 v0, v0, v3
	v_dual_add_f32 v2, v2, v5 :: v_dual_cndmask_b32 v0, 0, v0, s0
	s_delay_alu instid0(VALU_DEP_1) | instskip(SKIP_1) | instid1(TRANS32_DEP_1)
	v_exp_f32_e32 v2, v2
	v_cmp_ngt_f32_e64 s0, 0xc2ce8ed0, v9
	v_ldexp_f32 v2, v2, v4
	s_delay_alu instid0(VALU_DEP_1) | instskip(SKIP_1) | instid1(VALU_DEP_1)
	v_cndmask_b32_e64 v11, 0, v2, s0
	v_cmp_nlt_f32_e64 s0, 0x42b17218, v1
	v_cndmask_b32_e64 v12, 0x7f800000, v0, s0
	v_cmp_nlt_f32_e64 s0, 0x42b17218, v9
	ds_load_b128 v[0:3], v10
	ds_load_b128 v[4:7], v10 offset:16
	v_cndmask_b32_e64 v9, 0x7f800000, v11, s0
	v_cvt_f16_f32_e32 v11, v12
	v_cmp_eq_u32_e64 s0, 0, v21
	s_delay_alu instid0(VALU_DEP_2) | instskip(NEXT) | instid1(VALU_DEP_2)
	v_and_b32_e32 v11, 0xffff, v11
	v_cndmask_b32_e64 v9, 0, v9, s0
	v_cmp_eq_u32_e64 s0, 0, v77
	v_cndmask_b32_e32 v17, v17, v8, vcc_lo
	s_delay_alu instid0(VALU_DEP_4) | instskip(NEXT) | instid1(VALU_DEP_4)
	v_mul_u32_u24_e32 v11, 0x10001, v11
	v_fmac_f32_e32 v9, v13, v12
	s_delay_alu instid0(VALU_DEP_4) | instskip(SKIP_1) | instid1(VALU_DEP_3)
	v_cndmask_b32_e64 v16, v16, v8, s0
	s_wait_dscnt 0x1
	v_pk_mul_f16 v0, v0, v11
	s_delay_alu instid0(VALU_DEP_3)
	v_dual_cndmask_b32 v23, v23, v9, vcc_lo :: v_dual_cndmask_b32 v22, v22, v9, s0
	v_pk_mul_f16 v1, v1, v11
	v_pk_mul_f16 v2, v2, v11
	;; [unrolled: 1-line block ×3, first 2 shown]
	s_wait_dscnt 0x0
	v_pk_mul_f16 v4, v4, v11
	v_pk_mul_f16 v5, v5, v11
	;; [unrolled: 1-line block ×4, first 2 shown]
	ds_store_b128 v10, v[0:3]
	ds_store_b128 v10, v[4:7] offset:16
.LBB19_52:
	s_or_b32 exec_lo, exec_lo, s1
	v_add_nc_u32_e32 v4, 0x1100, v79
	v_or_b32_e32 v10, 0x1000, v79
	s_mov_b32 s0, exec_lo
	v_cmpx_eq_u32_e32 0, v77
	s_cbranch_execz .LBB19_54
; %bb.53:
	v_dual_mov_b32 v0, 0xfeffffff :: v_dual_mov_b32 v1, 0
	ds_store_2addr_b32 v10, v0, v0 offset1:32
	ds_store_2addr_b32 v4, v1, v1 offset1:32
.LBB19_54:
	s_or_b32 exec_lo, exec_lo, s0
	v_cmp_eq_u32_e64 s0, 0, v21
	s_wait_dscnt 0x0
	s_barrier_signal -1
	s_barrier_wait -1
	s_and_saveexec_b32 s1, s0
; %bb.55:
	v_lshlrev_b32_e32 v0, 2, v77
	s_delay_alu instid0(VALU_DEP_1)
	v_add_nc_u32_e32 v0, 0x1000, v0
	ds_store_2addr_b32 v0, v16, v17 offset1:32
; %bb.56:
	s_or_b32 exec_lo, exec_lo, s1
	s_delay_alu instid0(SALU_CYCLE_1)
	s_and_not1_b32 vcc_lo, exec_lo, s42
	s_wait_dscnt 0x0
	s_barrier_signal -1
	s_barrier_wait -1
	s_cbranch_vccnz .LBB19_59
; %bb.57:
	s_add_nc_u64 s[4:5], s[2:3], 0xd0
	s_cbranch_execz .LBB19_60
; %bb.58:
	s_mov_b64 s[14:15], s[4:5]
	s_branch .LBB19_68
.LBB19_59:
                                        ; implicit-def: $sgpr4_sgpr5
.LBB19_60:
	v_xor_b32_e32 v2, 8, v80
	v_xor_b32_e32 v1, 16, v80
	ds_load_b32 v0, v10
	ds_load_b128 v[12:15], v76
	ds_load_b128 v[24:27], v76 offset:16
	s_load_b32 s2, s[2:3], 0xd4
	v_cmp_gt_i32_e32 vcc_lo, 32, v1
	v_cndmask_b32_e32 v1, v80, v1, vcc_lo
	v_cmp_gt_i32_e32 vcc_lo, 32, v2
	v_cndmask_b32_e32 v2, v80, v2, vcc_lo
	s_delay_alu instid0(VALU_DEP_1)
	v_dual_lshlrev_b32 v5, 2, v2 :: v_dual_lshlrev_b32 v9, 2, v1
	v_xor_b32_e32 v2, 4, v80
	s_wait_dscnt 0x2
	ds_bpermute_b32 v1, v9, v0
	v_max_num_f32_e32 v0, v0, v0
	v_cmp_gt_i32_e32 vcc_lo, 32, v2
	s_wait_dscnt 0x0
	v_max_num_f32_e32 v1, v1, v1
	s_delay_alu instid0(VALU_DEP_1) | instskip(SKIP_3) | instid1(VALU_DEP_1)
	v_max_num_f32_e32 v0, v0, v1
	ds_bpermute_b32 v1, v5, v0
	s_wait_dscnt 0x0
	v_dual_cndmask_b32 v2, v80, v2 :: v_dual_max_num_f32 v1, v1, v1
	v_dual_lshlrev_b32 v6, 2, v2 :: v_dual_max_num_f32 v0, v0, v1
	ds_bpermute_b32 v1, v6, v0
	s_wait_dscnt 0x0
	v_dual_max_num_f32 v1, v1, v1 :: v_dual_bitop2_b32 v2, 2, v80 bitop3:0x14
	s_delay_alu instid0(VALU_DEP_1) | instskip(NEXT) | instid1(VALU_DEP_2)
	v_cmp_gt_i32_e32 vcc_lo, 32, v2
	v_max_num_f32_e32 v0, v0, v1
	v_cndmask_b32_e32 v2, v80, v2, vcc_lo
	s_delay_alu instid0(VALU_DEP_1) | instskip(SKIP_3) | instid1(VALU_DEP_1)
	v_lshlrev_b32_e32 v7, 2, v2
	ds_bpermute_b32 v1, v7, v0
	s_wait_dscnt 0x0
	v_dual_max_num_f32 v1, v1, v1 :: v_dual_bitop2_b32 v2, 1, v80 bitop3:0x14
	v_max_num_f32_e32 v0, v0, v1
	s_delay_alu instid0(VALU_DEP_2) | instskip(SKIP_1) | instid1(VALU_DEP_1)
	v_cmp_gt_i32_e32 vcc_lo, 32, v2
	v_cndmask_b32_e32 v2, v80, v2, vcc_lo
	v_lshlrev_b32_e32 v8, 2, v2
	ds_bpermute_b32 v1, v8, v0
	s_wait_dscnt 0x0
	v_max_num_f32_e32 v1, v1, v1
	s_delay_alu instid0(VALU_DEP_1) | instskip(NEXT) | instid1(VALU_DEP_1)
	v_max_num_f32_e32 v0, v0, v1
	v_sub_f32_e32 v1, v16, v0
	s_delay_alu instid0(VALU_DEP_1) | instskip(NEXT) | instid1(VALU_DEP_1)
	v_mul_f32_e32 v2, 0x3fb8aa3b, v1
	v_fma_f32 v3, 0x3fb8aa3b, v1, -v2
	v_rndne_f32_e32 v11, v2
	s_delay_alu instid0(VALU_DEP_1) | instskip(SKIP_1) | instid1(VALU_DEP_4)
	v_sub_f32_e32 v2, v2, v11
	v_cmp_ngt_f32_e32 vcc_lo, 0xc2ce8ed0, v1
	v_fmamk_f32 v3, v1, 0x32a5705f, v3
	s_delay_alu instid0(VALU_DEP_1) | instskip(SKIP_2) | instid1(VALU_DEP_3)
	v_add_f32_e32 v2, v2, v3
	v_cvt_i32_f32_e32 v3, v11
	v_lshlrev_b32_e32 v11, 5, v21
	v_exp_f32_e32 v2, v2
	v_nop
	s_delay_alu instid0(TRANS32_DEP_1) | instskip(NEXT) | instid1(VALU_DEP_1)
	v_ldexp_f32 v2, v2, v3
	v_cndmask_b32_e32 v2, 0, v2, vcc_lo
	v_cmp_nlt_f32_e32 vcc_lo, 0x42b17218, v1
	s_delay_alu instid0(VALU_DEP_2) | instskip(NEXT) | instid1(VALU_DEP_1)
	v_cndmask_b32_e32 v1, 0x7f800000, v2, vcc_lo
	v_mul_f32_e32 v2, v22, v1
	ds_bpermute_b32 v2, v9, v2
	s_wait_dscnt 0x0
	v_fmac_f32_e32 v2, v22, v1
	ds_bpermute_b32 v3, v5, v2
	s_wait_dscnt 0x0
	v_add_f32_e32 v2, v2, v3
	v_cvt_f16_f32_e32 v1, v1
	ds_bpermute_b32 v3, v6, v2
	v_and_b32_e32 v16, 0xffff, v1
	s_wait_dscnt 0x0
	v_add_f32_e32 v2, v2, v3
	ds_bpermute_b32 v3, v7, v2
	s_wait_dscnt 0x0
	v_add_f32_e32 v1, v2, v3
	v_and_b32_e32 v3, 0xf00, v11
	v_mul_u32_u24_e32 v11, 0x10001, v16
	ds_bpermute_b32 v2, v8, v1
	v_lshl_add_u32 v3, v77, 10, v3
	v_pk_mul_f16 v28, v12, v11
	v_pk_mul_f16 v29, v13, v11
	v_pk_mul_f16 v30, v14, v11
	v_pk_mul_f16 v31, v15, v11
	v_pk_mul_f16 v24, v24, v11
	v_pk_mul_f16 v25, v25, v11
	v_pk_mul_f16 v26, v26, v11
	v_pk_mul_f16 v27, v27, v11
	v_lshl_or_b32 v12, v20, 2, v3
	v_lshl_add_u32 v11, v77, 2, 0x1100
	ds_store_b128 v76, v[28:31]
	ds_store_b128 v76, v[24:27] offset:16
	ds_store_b128 v12, v[28:31]
	ds_store_b128 v12, v[24:27] offset:128
	s_and_saveexec_b32 s1, s0
	s_cbranch_execz .LBB19_62
; %bb.61:
	s_wait_dscnt 0x4
	v_add_f32_e32 v1, v1, v2
	ds_store_b32 v11, v1
.LBB19_62:
	s_or_b32 exec_lo, exec_lo, s1
	s_wait_dscnt 0x0
	s_barrier_signal -1
	s_barrier_wait -1
	ds_load_u16 v1, v75
	ds_load_u16 v2, v75 offset:256
	ds_load_u16 v3, v75 offset:512
	;; [unrolled: 1-line block ×6, first 2 shown]
	s_wait_kmcnt 0x0
	s_cmp_eq_u32 s2, 1
	s_mul_i32 s3, s30, s28
	s_cselect_b32 s1, -1, 0
	s_add_co_i32 s3, s40, s3
	s_delay_alu instid0(SALU_CYCLE_1) | instskip(NEXT) | instid1(SALU_CYCLE_1)
	s_mul_i32 s3, s3, s29
	s_add_co_i32 s3, s3, s33
	s_delay_alu instid0(SALU_CYCLE_1) | instskip(NEXT) | instid1(SALU_CYCLE_1)
	s_mul_i32 s4, s2, s3
	s_add_co_i32 s4, s4, s41
	s_wait_dscnt 0x6
	v_cvt_f32_f16_e32 v1, v1
	s_wait_dscnt 0x5
	v_cvt_f32_f16_e32 v2, v2
	;; [unrolled: 2-line block ×4, first 2 shown]
	v_add_f32_e32 v1, 0, v1
	s_wait_dscnt 0x1
	v_cvt_f32_f16_e32 v15, v15
	s_wait_dscnt 0x0
	v_cvt_f32_f16_e32 v16, v16
	v_add_f32_e32 v1, v1, v2
	v_cvt_f32_f16_e32 v2, v13
	s_delay_alu instid0(VALU_DEP_2)
	v_add_f32_e32 v1, v1, v3
	ds_load_u16 v13, v75 offset:1792
	ds_load_b32 v3, v4
	v_add_f32_e32 v1, v1, v2
	ds_load_u16 v2, v75 offset:2048
	v_add_f32_e32 v1, v1, v14
	ds_load_u16 v14, v75 offset:2304
	ds_load_u16 v18, v75 offset:2560
	;; [unrolled: 1-line block ×6, first 2 shown]
	v_add_f32_e32 v1, v1, v15
	s_wait_dscnt 0x8
	v_cvt_f32_f16_e32 v13, v13
	s_delay_alu instid0(VALU_DEP_2)
	v_add_f32_e32 v1, v1, v16
	s_wait_dscnt 0x7
	ds_bpermute_b32 v15, v9, v3
	s_wait_dscnt 0x7
	v_cvt_f32_f16_e32 v2, v2
	v_add_f32_e32 v1, v1, v13
	s_wait_dscnt 0x6
	v_cvt_f32_f16_e32 v13, v14
	s_delay_alu instid0(VALU_DEP_2)
	v_add_f32_e32 v1, v1, v2
	s_wait_dscnt 0x5
	v_cvt_f32_f16_e32 v2, v18
	s_wait_dscnt 0x4
	v_cvt_f32_f16_e32 v14, v19
	v_add_f32_e32 v1, v1, v13
	s_delay_alu instid0(VALU_DEP_1)
	v_add_f32_e32 v2, v1, v2
	ds_load_u16 v1, v75 offset:3840
	s_wait_dscnt 0x1
	v_pk_add_f32 v[2:3], v[2:3], v[14:15]
	v_cvt_f32_f16_e32 v14, v20
	ds_bpermute_b32 v15, v5, v3
	s_wait_dscnt 0x0
	v_pk_add_f32 v[2:3], v[2:3], v[14:15]
	v_cvt_f32_f16_e32 v14, v22
	ds_bpermute_b32 v15, v6, v3
	;; [unrolled: 4-line block ×4, first 2 shown]
	s_wait_dscnt 0x0
	v_pk_add_f32 v[2:3], v[2:3], v[14:15]
	s_delay_alu instid0(VALU_DEP_1) | instskip(SKIP_1) | instid1(VALU_DEP_2)
	v_div_scale_f32 v1, null, v3, v3, v2
	v_div_scale_f32 v15, vcc_lo, v2, v3, v2
	v_rcp_f32_e32 v13, v1
	v_nop
	s_delay_alu instid0(TRANS32_DEP_1) | instskip(NEXT) | instid1(VALU_DEP_1)
	v_fma_f32 v14, -v1, v13, 1.0
	v_fmac_f32_e32 v13, v14, v13
	s_delay_alu instid0(VALU_DEP_1) | instskip(NEXT) | instid1(VALU_DEP_1)
	v_mul_f32_e32 v14, v15, v13
	v_fma_f32 v16, -v1, v14, v15
	s_delay_alu instid0(VALU_DEP_1) | instskip(NEXT) | instid1(VALU_DEP_1)
	v_fmac_f32_e32 v14, v16, v13
	v_fma_f32 v1, -v1, v14, v15
	s_delay_alu instid0(VALU_DEP_1) | instskip(SKIP_2) | instid1(VALU_DEP_3)
	v_div_fmas_f32 v1, v1, v13, v14
	v_cmp_ne_u32_e32 vcc_lo, 1, v78
	v_lshl_or_b32 v13, s4, 7, v74
	v_div_fixup_f32 v1, v1, v3, v2
	s_and_b32 vcc_lo, exec_lo, vcc_lo
	s_delay_alu instid0(VALU_DEP_1)
	v_cndmask_b32_e64 v2, v2, v1, s1
	global_store_b32 v13, v2, s[16:17] scale_offset
	s_wait_storecnt 0x0
	s_barrier_signal -1
	s_barrier_wait -1
	s_cbranch_vccnz .LBB19_66
; %bb.63:
	ds_load_b32 v1, v10 offset:128
	s_wait_dscnt 0x0
	s_wait_xcnt 0x0
	ds_bpermute_b32 v2, v9, v1
	s_wait_dscnt 0x0
	v_dual_max_num_f32 v1, v1, v1 :: v_dual_max_num_f32 v2, v2, v2
	s_delay_alu instid0(VALU_DEP_1) | instskip(SKIP_3) | instid1(VALU_DEP_1)
	v_max_num_f32_e32 v1, v1, v2
	ds_bpermute_b32 v2, v5, v1
	s_wait_dscnt 0x0
	v_max_num_f32_e32 v2, v2, v2
	v_max_num_f32_e32 v1, v1, v2
	ds_bpermute_b32 v2, v6, v1
	s_wait_dscnt 0x0
	v_max_num_f32_e32 v2, v2, v2
	s_delay_alu instid0(VALU_DEP_1) | instskip(SKIP_3) | instid1(VALU_DEP_1)
	v_max_num_f32_e32 v1, v1, v2
	ds_bpermute_b32 v2, v7, v1
	s_wait_dscnt 0x0
	v_max_num_f32_e32 v2, v2, v2
	v_max_num_f32_e32 v1, v1, v2
	ds_bpermute_b32 v2, v8, v1
	s_wait_dscnt 0x0
	v_max_num_f32_e32 v2, v2, v2
	s_delay_alu instid0(VALU_DEP_1) | instskip(NEXT) | instid1(VALU_DEP_1)
	v_max_num_f32_e32 v1, v1, v2
	v_sub_f32_e32 v2, v17, v1
	s_delay_alu instid0(VALU_DEP_1) | instskip(NEXT) | instid1(VALU_DEP_1)
	v_mul_f32_e32 v10, 0x3fb8aa3b, v2
	v_fma_f32 v13, 0x3fb8aa3b, v2, -v10
	v_rndne_f32_e32 v14, v10
	s_delay_alu instid0(VALU_DEP_1) | instskip(SKIP_1) | instid1(VALU_DEP_4)
	v_sub_f32_e32 v10, v10, v14
	v_cmp_ngt_f32_e32 vcc_lo, 0xc2ce8ed0, v2
	v_fmamk_f32 v13, v2, 0x32a5705f, v13
	s_delay_alu instid0(VALU_DEP_1) | instskip(SKIP_4) | instid1(TRANS32_DEP_1)
	v_add_f32_e32 v10, v10, v13
	v_cvt_i32_f32_e32 v13, v14
	ds_load_b128 v[14:17], v76 offset:32
	v_exp_f32_e32 v10, v10
	v_nop
	v_ldexp_f32 v10, v10, v13
	s_delay_alu instid0(VALU_DEP_1) | instskip(SKIP_1) | instid1(VALU_DEP_2)
	v_cndmask_b32_e32 v10, 0, v10, vcc_lo
	v_cmp_nlt_f32_e32 vcc_lo, 0x42b17218, v2
	v_cndmask_b32_e32 v2, 0x7f800000, v10, vcc_lo
	s_delay_alu instid0(VALU_DEP_1)
	v_mul_f32_e32 v10, v23, v2
	ds_bpermute_b32 v10, v9, v10
	s_wait_dscnt 0x0
	v_fmac_f32_e32 v10, v23, v2
	v_cvt_f16_f32_e32 v2, v2
	ds_load_b128 v[22:25], v76 offset:48
	ds_bpermute_b32 v13, v5, v10
	v_and_b32_e32 v18, 0xffff, v2
	s_wait_dscnt 0x0
	v_add_f32_e32 v10, v10, v13
	ds_bpermute_b32 v13, v6, v10
	s_wait_dscnt 0x0
	v_add_f32_e32 v10, v10, v13
	ds_bpermute_b32 v13, v7, v10
	s_wait_dscnt 0x0
	v_add_f32_e32 v2, v10, v13
	v_mul_u32_u24_e32 v13, 0x10001, v18
	ds_bpermute_b32 v10, v8, v2
	v_pk_mul_f16 v14, v14, v13
	v_pk_mul_f16 v15, v15, v13
	v_pk_mul_f16 v16, v16, v13
	v_pk_mul_f16 v17, v17, v13
	v_pk_mul_f16 v22, v22, v13
	v_pk_mul_f16 v23, v23, v13
	v_pk_mul_f16 v24, v24, v13
	v_pk_mul_f16 v25, v25, v13
	v_or_b32_e32 v13, 0x80, v12
	ds_store_b128 v76, v[14:17] offset:32
	ds_store_b128 v76, v[22:25] offset:48
	ds_store_b128 v12, v[14:17]
	ds_store_b128 v13, v[22:25]
	s_and_saveexec_b32 s4, s0
	s_cbranch_execz .LBB19_65
; %bb.64:
	s_wait_dscnt 0x4
	v_add_f32_e32 v2, v2, v10
	ds_store_b32 v11, v2 offset:128
.LBB19_65:
	s_or_b32 exec_lo, exec_lo, s4
	s_wait_dscnt 0x0
	s_barrier_signal -1
	s_barrier_wait -1
	ds_load_u16 v2, v75
	ds_load_u16 v10, v75 offset:256
	ds_load_u16 v11, v75 offset:512
	;; [unrolled: 1-line block ×6, first 2 shown]
	s_add_co_i32 s3, s3, s29
	s_delay_alu instid0(SALU_CYCLE_1) | instskip(NEXT) | instid1(SALU_CYCLE_1)
	s_mul_i32 s0, s2, s3
	s_add_co_i32 s0, s0, s41
	s_wait_dscnt 0x6
	v_cvt_f32_f16_e32 v2, v2
	s_wait_dscnt 0x5
	v_cvt_f32_f16_e32 v10, v10
	;; [unrolled: 2-line block ×3, first 2 shown]
	v_add_f32_e32 v2, 0, v2
	s_delay_alu instid0(VALU_DEP_1) | instskip(SKIP_2) | instid1(VALU_DEP_2)
	v_add_f32_e32 v2, v2, v10
	s_wait_dscnt 0x3
	v_cvt_f32_f16_e32 v10, v12
	v_add_f32_e32 v2, v2, v11
	ds_load_u16 v12, v75 offset:1792
	ds_load_b32 v11, v4 offset:128
	s_wait_dscnt 0x4
	v_cvt_f32_f16_e32 v4, v13
	s_wait_dscnt 0x3
	v_cvt_f32_f16_e32 v13, v14
	;; [unrolled: 2-line block ×3, first 2 shown]
	v_add_f32_e32 v2, v2, v10
	ds_load_u16 v10, v75 offset:2048
	v_add_f32_e32 v2, v2, v4
	ds_load_u16 v4, v75 offset:2304
	ds_load_u16 v15, v75 offset:2560
	;; [unrolled: 1-line block ×6, first 2 shown]
	v_add_f32_e32 v2, v2, v13
	s_wait_dscnt 0x8
	v_cvt_f32_f16_e32 v12, v12
	s_delay_alu instid0(VALU_DEP_2)
	v_add_f32_e32 v2, v2, v14
	s_wait_dscnt 0x7
	ds_bpermute_b32 v13, v9, v11
	s_wait_dscnt 0x7
	v_cvt_f32_f16_e32 v9, v10
	v_add_f32_e32 v2, v2, v12
	s_wait_dscnt 0x4
	v_cvt_f32_f16_e32 v12, v16
	v_cvt_f32_f16_e32 v4, v4
	s_delay_alu instid0(VALU_DEP_3) | instskip(SKIP_1) | instid1(VALU_DEP_2)
	v_add_f32_e32 v2, v2, v9
	v_cvt_f32_f16_e32 v9, v15
	v_add_f32_e32 v2, v2, v4
	s_wait_dscnt 0x3
	v_cvt_f32_f16_e32 v4, v17
	s_delay_alu instid0(VALU_DEP_2)
	v_add_f32_e32 v10, v2, v9
	ds_load_u16 v2, v75 offset:3840
	s_wait_dscnt 0x1
	v_pk_add_f32 v[10:11], v[10:11], v[12:13]
	ds_bpermute_b32 v5, v5, v11
	s_wait_dscnt 0x0
	v_pk_add_f32 v[4:5], v[10:11], v[4:5]
	v_cvt_f32_f16_e32 v10, v18
	ds_bpermute_b32 v11, v6, v5
	v_cvt_f32_f16_e32 v6, v19
	s_wait_dscnt 0x0
	v_pk_add_f32 v[4:5], v[4:5], v[10:11]
	ds_bpermute_b32 v7, v7, v5
	s_wait_dscnt 0x0
	v_pk_add_f32 v[4:5], v[4:5], v[6:7]
	v_cvt_f32_f16_e32 v6, v2
	ds_bpermute_b32 v7, v8, v5
	s_wait_dscnt 0x0
	v_pk_add_f32 v[22:23], v[4:5], v[6:7]
	s_delay_alu instid0(VALU_DEP_1) | instskip(NEXT) | instid1(VALU_DEP_1)
	v_div_scale_f32 v2, null, v23, v23, v22
	v_rcp_f32_e32 v4, v2
	v_nop
	s_delay_alu instid0(TRANS32_DEP_1) | instskip(NEXT) | instid1(VALU_DEP_1)
	v_fma_f32 v5, -v2, v4, 1.0
	v_fmac_f32_e32 v4, v5, v4
	v_div_scale_f32 v5, vcc_lo, v22, v23, v22
	s_delay_alu instid0(VALU_DEP_1) | instskip(NEXT) | instid1(VALU_DEP_1)
	v_mul_f32_e32 v6, v5, v4
	v_fma_f32 v7, -v2, v6, v5
	s_delay_alu instid0(VALU_DEP_1) | instskip(NEXT) | instid1(VALU_DEP_1)
	v_fmac_f32_e32 v6, v7, v4
	v_fma_f32 v2, -v2, v6, v5
	s_delay_alu instid0(VALU_DEP_1) | instskip(SKIP_1) | instid1(VALU_DEP_2)
	v_div_fmas_f32 v2, v2, v4, v6
	v_lshl_or_b32 v4, s0, 7, v74
	v_div_fixup_f32 v2, v2, v23, v22
	s_delay_alu instid0(VALU_DEP_1)
	v_cndmask_b32_e64 v2, v22, v2, s1
	global_store_b32 v4, v2, s[16:17] scale_offset
	s_branch .LBB19_67
.LBB19_66:
	v_mov_b32_e32 v1, v17
.LBB19_67:
	s_delay_alu instid0(VALU_DEP_1)
	v_mov_b64_e32 v[16:17], v[0:1]
	v_mov_b32_e32 v22, v3
.LBB19_68:
	s_load_b32 s1, s[14:15], 0x4
	v_or_b32_e32 v0, s40, v21
	v_cmp_gt_u32_e32 vcc_lo, 2, v74
	s_delay_alu instid0(VALU_DEP_2) | instskip(SKIP_3) | instid1(SALU_CYCLE_1)
	v_cmp_gt_i32_e64 s0, s28, v0
	s_wait_kmcnt 0x0
	s_cmp_lg_u32 s1, 1
	s_cselect_b32 s2, -1, 0
	s_and_b32 s2, s2, vcc_lo
	s_delay_alu instid0(SALU_CYCLE_1) | instskip(NEXT) | instid1(SALU_CYCLE_1)
	s_and_b32 s0, s2, s0
	s_and_saveexec_b32 s2, s0
	s_cbranch_execz .LBB19_70
; %bb.69:
	v_mad_u32 v0, s30, s28, v0
	v_cmp_eq_u32_e32 vcc_lo, 1, v74
	v_cndmask_b32_e32 v1, v22, v23, vcc_lo
	s_delay_alu instid0(VALU_DEP_3) | instskip(NEXT) | instid1(VALU_DEP_1)
	v_mad_u32 v0, v0, s29, s33
	v_mad_u32 v2, s1, v0, s41
	v_cndmask_b32_e32 v0, v16, v17, vcc_lo
	global_store_b64 v2, v[0:1], s[18:19] scale_offset
.LBB19_70:
	s_sendmsg sendmsg(MSG_DEALLOC_VGPRS)
	s_endpgm
	.section	.rodata,"a",@progbits
	.p2align	6, 0x0
	.amdhsa_kernel _ZL18flash_attn_ext_vecILi128ELi2EL9ggml_type1ELS0_1ELb0EEvPKcS2_S2_S2_S2_PKiPfP15HIP_vector_typeIfLj2EEffffjfiS6_IjLj3EEiiiiiiiiiiiliiliiiiil
		.amdhsa_group_segment_fixed_size 12800
		.amdhsa_private_segment_fixed_size 0
		.amdhsa_kernarg_size 464
		.amdhsa_user_sgpr_count 4
		.amdhsa_user_sgpr_dispatch_ptr 1
		.amdhsa_user_sgpr_queue_ptr 0
		.amdhsa_user_sgpr_kernarg_segment_ptr 1
		.amdhsa_user_sgpr_dispatch_id 0
		.amdhsa_user_sgpr_kernarg_preload_length 0
		.amdhsa_user_sgpr_kernarg_preload_offset 0
		.amdhsa_user_sgpr_private_segment_size 0
		.amdhsa_wavefront_size32 1
		.amdhsa_uses_dynamic_stack 0
		.amdhsa_enable_private_segment 0
		.amdhsa_system_sgpr_workgroup_id_x 1
		.amdhsa_system_sgpr_workgroup_id_y 1
		.amdhsa_system_sgpr_workgroup_id_z 1
		.amdhsa_system_sgpr_workgroup_info 0
		.amdhsa_system_vgpr_workitem_id 2
		.amdhsa_next_free_vgpr 187
		.amdhsa_next_free_sgpr 53
		.amdhsa_named_barrier_count 0
		.amdhsa_reserve_vcc 1
		.amdhsa_float_round_mode_32 0
		.amdhsa_float_round_mode_16_64 0
		.amdhsa_float_denorm_mode_32 3
		.amdhsa_float_denorm_mode_16_64 3
		.amdhsa_fp16_overflow 0
		.amdhsa_memory_ordered 1
		.amdhsa_forward_progress 1
		.amdhsa_inst_pref_size 92
		.amdhsa_round_robin_scheduling 0
		.amdhsa_exception_fp_ieee_invalid_op 0
		.amdhsa_exception_fp_denorm_src 0
		.amdhsa_exception_fp_ieee_div_zero 0
		.amdhsa_exception_fp_ieee_overflow 0
		.amdhsa_exception_fp_ieee_underflow 0
		.amdhsa_exception_fp_ieee_inexact 0
		.amdhsa_exception_int_div_zero 0
	.end_amdhsa_kernel
	.section	.text._ZL18flash_attn_ext_vecILi128ELi2EL9ggml_type1ELS0_1ELb0EEvPKcS2_S2_S2_S2_PKiPfP15HIP_vector_typeIfLj2EEffffjfiS6_IjLj3EEiiiiiiiiiiiliiliiiiil,"axG",@progbits,_ZL18flash_attn_ext_vecILi128ELi2EL9ggml_type1ELS0_1ELb0EEvPKcS2_S2_S2_S2_PKiPfP15HIP_vector_typeIfLj2EEffffjfiS6_IjLj3EEiiiiiiiiiiiliiliiiiil,comdat
.Lfunc_end19:
	.size	_ZL18flash_attn_ext_vecILi128ELi2EL9ggml_type1ELS0_1ELb0EEvPKcS2_S2_S2_S2_PKiPfP15HIP_vector_typeIfLj2EEffffjfiS6_IjLj3EEiiiiiiiiiiiliiliiiiil, .Lfunc_end19-_ZL18flash_attn_ext_vecILi128ELi2EL9ggml_type1ELS0_1ELb0EEvPKcS2_S2_S2_S2_PKiPfP15HIP_vector_typeIfLj2EEffffjfiS6_IjLj3EEiiiiiiiiiiiliiliiiiil
                                        ; -- End function
	.set _ZL18flash_attn_ext_vecILi128ELi2EL9ggml_type1ELS0_1ELb0EEvPKcS2_S2_S2_S2_PKiPfP15HIP_vector_typeIfLj2EEffffjfiS6_IjLj3EEiiiiiiiiiiiliiliiiiil.num_vgpr, 187
	.set _ZL18flash_attn_ext_vecILi128ELi2EL9ggml_type1ELS0_1ELb0EEvPKcS2_S2_S2_S2_PKiPfP15HIP_vector_typeIfLj2EEffffjfiS6_IjLj3EEiiiiiiiiiiiliiliiiiil.num_agpr, 0
	.set _ZL18flash_attn_ext_vecILi128ELi2EL9ggml_type1ELS0_1ELb0EEvPKcS2_S2_S2_S2_PKiPfP15HIP_vector_typeIfLj2EEffffjfiS6_IjLj3EEiiiiiiiiiiiliiliiiiil.numbered_sgpr, 53
	.set _ZL18flash_attn_ext_vecILi128ELi2EL9ggml_type1ELS0_1ELb0EEvPKcS2_S2_S2_S2_PKiPfP15HIP_vector_typeIfLj2EEffffjfiS6_IjLj3EEiiiiiiiiiiiliiliiiiil.num_named_barrier, 0
	.set _ZL18flash_attn_ext_vecILi128ELi2EL9ggml_type1ELS0_1ELb0EEvPKcS2_S2_S2_S2_PKiPfP15HIP_vector_typeIfLj2EEffffjfiS6_IjLj3EEiiiiiiiiiiiliiliiiiil.private_seg_size, 0
	.set _ZL18flash_attn_ext_vecILi128ELi2EL9ggml_type1ELS0_1ELb0EEvPKcS2_S2_S2_S2_PKiPfP15HIP_vector_typeIfLj2EEffffjfiS6_IjLj3EEiiiiiiiiiiiliiliiiiil.uses_vcc, 1
	.set _ZL18flash_attn_ext_vecILi128ELi2EL9ggml_type1ELS0_1ELb0EEvPKcS2_S2_S2_S2_PKiPfP15HIP_vector_typeIfLj2EEffffjfiS6_IjLj3EEiiiiiiiiiiiliiliiiiil.uses_flat_scratch, 0
	.set _ZL18flash_attn_ext_vecILi128ELi2EL9ggml_type1ELS0_1ELb0EEvPKcS2_S2_S2_S2_PKiPfP15HIP_vector_typeIfLj2EEffffjfiS6_IjLj3EEiiiiiiiiiiiliiliiiiil.has_dyn_sized_stack, 0
	.set _ZL18flash_attn_ext_vecILi128ELi2EL9ggml_type1ELS0_1ELb0EEvPKcS2_S2_S2_S2_PKiPfP15HIP_vector_typeIfLj2EEffffjfiS6_IjLj3EEiiiiiiiiiiiliiliiiiil.has_recursion, 0
	.set _ZL18flash_attn_ext_vecILi128ELi2EL9ggml_type1ELS0_1ELb0EEvPKcS2_S2_S2_S2_PKiPfP15HIP_vector_typeIfLj2EEffffjfiS6_IjLj3EEiiiiiiiiiiiliiliiiiil.has_indirect_call, 0
	.section	.AMDGPU.csdata,"",@progbits
; Kernel info:
; codeLenInByte = 11660
; TotalNumSgprs: 55
; NumVgprs: 187
; ScratchSize: 0
; MemoryBound: 0
; FloatMode: 240
; IeeeMode: 1
; LDSByteSize: 12800 bytes/workgroup (compile time only)
; SGPRBlocks: 0
; VGPRBlocks: 11
; NumSGPRsForWavesPerEU: 55
; NumVGPRsForWavesPerEU: 187
; NamedBarCnt: 0
; Occupancy: 5
; WaveLimiterHint : 1
; COMPUTE_PGM_RSRC2:SCRATCH_EN: 0
; COMPUTE_PGM_RSRC2:USER_SGPR: 4
; COMPUTE_PGM_RSRC2:TRAP_HANDLER: 0
; COMPUTE_PGM_RSRC2:TGID_X_EN: 1
; COMPUTE_PGM_RSRC2:TGID_Y_EN: 1
; COMPUTE_PGM_RSRC2:TGID_Z_EN: 1
; COMPUTE_PGM_RSRC2:TIDIG_COMP_CNT: 2
	.section	.text._ZL33flash_attn_stream_k_fixup_uniformILi128ELi2ELi1EEvPfPK15HIP_vector_typeIfLj2EEiiiiiiS1_IjLj3EES5_S5_,"axG",@progbits,_ZL33flash_attn_stream_k_fixup_uniformILi128ELi2ELi1EEvPfPK15HIP_vector_typeIfLj2EEiiiiiiS1_IjLj3EES5_S5_,comdat
	.globl	_ZL33flash_attn_stream_k_fixup_uniformILi128ELi2ELi1EEvPfPK15HIP_vector_typeIfLj2EEiiiiiiS1_IjLj3EES5_S5_ ; -- Begin function _ZL33flash_attn_stream_k_fixup_uniformILi128ELi2ELi1EEvPfPK15HIP_vector_typeIfLj2EEiiiiiiS1_IjLj3EES5_S5_
	.p2align	8
	.type	_ZL33flash_attn_stream_k_fixup_uniformILi128ELi2ELi1EEvPfPK15HIP_vector_typeIfLj2EEiiiiiiS1_IjLj3EES5_S5_,@function
_ZL33flash_attn_stream_k_fixup_uniformILi128ELi2ELi1EEvPfPK15HIP_vector_typeIfLj2EEiiiiiiS1_IjLj3EES5_S5_: ; @_ZL33flash_attn_stream_k_fixup_uniformILi128ELi2ELi1EEvPfPK15HIP_vector_typeIfLj2EEiiiiiiS1_IjLj3EES5_S5_
; %bb.0:
	s_load_b256 s[4:11], s[0:1], 0x1c
	s_bfe_u32 s2, ttmp6, 0x40014
	s_lshr_b32 s3, ttmp7, 16
	s_add_co_i32 s2, s2, 1
	s_bfe_u32 s13, ttmp6, 0x40010
	s_mul_i32 s2, s3, s2
	s_bfe_u32 s12, ttmp6, 0x40008
	s_and_b32 s14, ttmp7, 0xffff
	s_add_co_i32 s13, s13, 1
	s_bfe_u32 s15, ttmp6, 0x4000c
	s_add_co_i32 s2, s12, s2
	s_mul_i32 s12, s14, s13
	s_bfe_u32 s13, ttmp6, 0x40004
	s_add_co_i32 s15, s15, 1
	s_add_co_i32 s13, s13, s12
	s_and_b32 s12, ttmp6, 15
	s_mul_i32 s15, ttmp9, s15
	s_getreg_b32 s20, hwreg(HW_REG_IB_STS2, 6, 4)
	s_add_co_i32 s12, s12, s15
	s_load_b128 s[16:19], s[0:1], 0x3c
	s_cmp_eq_u32 s20, 0
	s_cselect_b32 s12, ttmp9, s12
	s_cselect_b32 s13, s14, s13
	s_wait_kmcnt 0x0
	s_mul_hi_u32 s7, s7, s12
	s_cselect_b32 s14, s3, s2
	s_add_co_i32 s2, s12, s7
	s_delay_alu instid0(SALU_CYCLE_1) | instskip(NEXT) | instid1(SALU_CYCLE_1)
	s_lshr_b32 s7, s2, s8
	s_mul_i32 s2, s7, s9
	s_delay_alu instid0(SALU_CYCLE_1) | instskip(NEXT) | instid1(SALU_CYCLE_1)
	s_sub_co_i32 s8, s12, s2
	s_mul_hi_u32 s2, s8, s10
	s_delay_alu instid0(SALU_CYCLE_1) | instskip(SKIP_2) | instid1(SALU_CYCLE_1)
	s_add_co_i32 s9, s8, s2
	s_load_b64 s[2:3], s[0:1], 0x10
	s_lshr_b32 s15, s9, s11
	s_mul_i32 s9, s15, s16
	s_delay_alu instid0(SALU_CYCLE_1) | instskip(NEXT) | instid1(SALU_CYCLE_1)
	s_sub_co_i32 s8, s8, s9
	s_mul_hi_u32 s9, s8, s17
	s_delay_alu instid0(SALU_CYCLE_1) | instskip(NEXT) | instid1(SALU_CYCLE_1)
	s_add_co_i32 s9, s8, s9
	s_lshr_b32 s16, s9, s18
	s_delay_alu instid0(SALU_CYCLE_1) | instskip(NEXT) | instid1(SALU_CYCLE_1)
	s_mul_i32 s9, s16, s19
	s_sub_co_i32 s17, s8, s9
	s_delay_alu instid0(SALU_CYCLE_1) | instskip(NEXT) | instid1(SALU_CYCLE_1)
	s_lshl_b32 s8, s17, 1
	s_add_co_i32 s8, s8, s13
	s_wait_kmcnt 0x0
	s_cmp_lt_i32 s8, s2
	s_cselect_b32 s8, -1, 0
	s_add_co_i32 s9, s16, s14
	s_delay_alu instid0(SALU_CYCLE_1) | instskip(SKIP_1) | instid1(SALU_CYCLE_1)
	s_cmp_lt_i32 s9, s5
	s_cselect_b32 s9, -1, 0
	s_and_b32 s8, s8, s9
	s_delay_alu instid0(SALU_CYCLE_1)
	s_and_not1_b32 vcc_lo, exec_lo, s8
	s_cbranch_vccnz .LBB20_6
; %bb.1:
	s_mul_i32 s2, s7, s2
	s_load_b128 s[8:11], s[0:1], 0x0
	s_wait_xcnt 0x0
	s_add_co_i32 s0, s2, s13
	s_mul_i32 s15, s15, s5
	s_mul_i32 s0, s0, s3
	;; [unrolled: 1-line block ×3, first 2 shown]
	s_add_co_i32 s0, s0, s14
	s_lshl_b32 s1, s1, 8
	s_add_co_i32 s0, s0, s15
	s_mul_i32 s7, s6, s12
	s_add_co_i32 s0, s0, s16
	s_add_co_i32 s5, s7, s6
	s_lshl_b32 s0, s0, 7
	s_add_co_i32 s13, s13, s14
	s_add_co_i32 s1, s1, s0
	s_lshl_b32 s0, s5, 1
	v_or_b32_e32 v4, s1, v0
	s_add_co_i32 s0, s13, s0
	s_add_co_i32 s2, s5, -2
	s_add_co_i32 s0, s0, -2
	s_delay_alu instid0(SALU_CYCLE_1)
	s_ashr_i32 s1, s0, 31
	s_wait_kmcnt 0x0
	global_load_b32 v3, v4, s[8:9] scale_offset
	s_lshl_b64 s[0:1], s[0:1], 3
	v_ashrrev_i32_e32 v5, 31, v4
	s_add_nc_u64 s[0:1], s[10:11], s[0:1]
	s_cmp_lt_i32 s2, s7
	s_load_b32 s14, s[0:1], 0x4
	s_cbranch_scc1 .LBB20_4
; %bb.2:
	s_wait_xcnt 0x0
	s_load_b32 s0, s[0:1], 0x0
	s_add_co_i32 s12, s12, 1
	s_lshl_b32 s3, s13, 7
	s_wait_xcnt 0x0
	s_mul_i32 s1, s6, s12
	s_lshl_b32 s2, s4, 3
	s_lshl_b32 s6, s1, 8
	;; [unrolled: 1-line block ×3, first 2 shown]
	s_add_co_i32 s6, s3, s6
	s_ashr_i32 s3, s2, 31
	s_wait_kmcnt 0x0
	v_dual_mov_b32 v2, s14 :: v_dual_bitop2_b32 v0, s6, v0 bitop3:0x54
	s_add_co_i32 s1, s13, s1
	s_lshl_b32 s4, s4, 1
	s_lshl_b64 s[2:3], s[2:3], 2
	s_delay_alu instid0(VALU_DEP_1)
	v_add_nc_u32_e32 v0, 0xfffffe00, v0
	s_add_co_i32 s4, s1, s4
	s_add_nc_u64 s[2:3], s[10:11], s[2:3]
	s_add_co_i32 s1, s5, -1
	s_add_co_i32 s4, s4, -4
.LBB20_3:                               ; =>This Inner Loop Header: Depth=1
	global_load_b32 v7, v0, s[2:3] scale_offset
	s_ashr_i32 s5, s4, 31
	v_max_num_f32_e64 v1, s0, s0
	s_lshl_b64 s[12:13], s[4:5], 3
	s_delay_alu instid0(SALU_CYCLE_1) | instskip(SKIP_1) | instid1(VALU_DEP_1)
	s_add_nc_u64 s[12:13], s[10:11], s[12:13]
	s_load_b64 s[12:13], s[12:13], 0x0
	v_readfirstlane_b32 s5, v1
	v_add_nc_u32_e32 v0, 0xffffff00, v0
	s_wait_kmcnt 0x0
	v_max_num_f32_e64 v1, s12, s12
	s_delay_alu instid0(VALU_DEP_1) | instskip(SKIP_1) | instid1(SALU_CYCLE_3)
	v_readfirstlane_b32 s6, v1
	s_max_num_f32 s5, s5, s6
	s_sub_f32 s0, s0, s5
	s_sub_f32 s6, s12, s5
	s_delay_alu instid0(SALU_CYCLE_2) | instskip(NEXT) | instid1(SALU_CYCLE_2)
	s_mul_f32 s12, s0, 0x3fb8aa3b
	s_mul_f32 s14, s6, 0x3fb8aa3b
	s_delay_alu instid0(SALU_CYCLE_2)
	s_xor_b32 s15, s12, 0x80000000
	s_rndne_f32 s16, s12
	s_fmamk_f32 s15, s0, 0x3fb8aa3b, s15
	s_cmp_nlt_f32 s0, 0xc2ce8ed0
	s_rndne_f32 s17, s14
	s_sub_f32 s12, s12, s16
	s_fmamk_f32 s15, s0, 0x32a5705f, s15
	s_cselect_b32 vcc_lo, -1, 0
	s_cmp_ngt_f32 s0, 0x42b17218
	s_delay_alu instid0(SALU_CYCLE_1) | instskip(SKIP_2) | instid1(SALU_CYCLE_1)
	s_add_f32 s12, s12, s15
	s_cvt_i32_f32 s15, s16
	s_sub_f32 s16, s14, s17
	v_s_exp_f32 s12, s12
	v_nop
	s_delay_alu instid0(TRANS32_DEP_1) | instskip(SKIP_1) | instid1(VALU_DEP_1)
	v_ldexp_f32 v1, s12, s15
	s_cvt_i32_f32 s12, s17
	v_cndmask_b32_e32 v1, 0, v1, vcc_lo
	s_cselect_b32 vcc_lo, -1, 0
	s_cmp_ge_f32 s0, 0xc1a00000
	s_delay_alu instid0(VALU_DEP_1)
	v_cndmask_b32_e32 v1, 0x7f800000, v1, vcc_lo
	s_cselect_b32 vcc_lo, -1, 0
	s_xor_b32 s0, s14, 0x80000000
	s_cmp_nlt_f32 s6, 0xc2ce8ed0
	s_fmamk_f32 s0, s6, 0x3fb8aa3b, s0
	v_cndmask_b32_e32 v10, 0, v1, vcc_lo
	s_delay_alu instid0(SALU_CYCLE_2) | instskip(NEXT) | instid1(SALU_CYCLE_3)
	s_fmamk_f32 s0, s6, 0x32a5705f, s0
	s_add_f32 s0, s16, s0
	s_delay_alu instid0(SALU_CYCLE_3) | instskip(SKIP_1) | instid1(TRANS32_DEP_1)
	v_s_exp_f32 s0, s0
	v_nop
	v_ldexp_f32 v6, s0, s12
	s_cselect_b32 s0, -1, 0
	s_cmp_ngt_f32 s6, 0x42b17218
	s_delay_alu instid0(VALU_DEP_1) | instskip(SKIP_2) | instid1(VALU_DEP_1)
	v_cndmask_b32_e64 v6, 0, v6, s0
	s_cselect_b32 s0, -1, 0
	s_cmp_ge_f32 s6, 0xc1a00000
	v_cndmask_b32_e64 v8, 0x7f800000, v6, s0
	s_cselect_b32 s0, -1, 0
	v_mov_b32_e32 v6, s13
	s_add_co_i32 s1, s1, -1
	s_add_co_i32 s4, s4, -2
	v_cndmask_b32_e64 v8, 0, v8, s0
	s_cmp_le_i32 s1, s7
	s_mov_b32 s0, s5
	s_wait_loadcnt 0x0
	s_delay_alu instid0(VALU_DEP_1) | instskip(NEXT) | instid1(VALU_DEP_1)
	v_pk_mul_f32 v[6:7], v[6:7], v[8:9] op_sel_hi:[1,0]
	v_pk_fma_f32 v[2:3], v[2:3], v[10:11], v[6:7] op_sel_hi:[1,0,1]
	s_cbranch_scc0 .LBB20_3
	s_branch .LBB20_5
.LBB20_4:
	s_wait_kmcnt 0x0
	v_mov_b32_e32 v2, s14
.LBB20_5:
	v_lshl_add_u64 v[0:1], v[4:5], 2, s[8:9]
	s_wait_loadcnt 0x0
	s_delay_alu instid0(VALU_DEP_2) | instskip(NEXT) | instid1(VALU_DEP_1)
	v_div_scale_f32 v4, null, v2, v2, v3
	v_rcp_f32_e32 v5, v4
	v_nop
	s_delay_alu instid0(TRANS32_DEP_1) | instskip(NEXT) | instid1(VALU_DEP_1)
	v_fma_f32 v6, -v4, v5, 1.0
	v_fmac_f32_e32 v5, v6, v5
	v_div_scale_f32 v6, vcc_lo, v3, v2, v3
	s_delay_alu instid0(VALU_DEP_1) | instskip(NEXT) | instid1(VALU_DEP_1)
	v_mul_f32_e32 v7, v6, v5
	v_fma_f32 v8, -v4, v7, v6
	s_delay_alu instid0(VALU_DEP_1) | instskip(NEXT) | instid1(VALU_DEP_1)
	v_fmac_f32_e32 v7, v8, v5
	v_fma_f32 v4, -v4, v7, v6
	s_delay_alu instid0(VALU_DEP_1) | instskip(NEXT) | instid1(VALU_DEP_1)
	v_div_fmas_f32 v4, v4, v5, v7
	v_div_fixup_f32 v2, v4, v2, v3
	global_store_b32 v[0:1], v2, off
.LBB20_6:
	s_endpgm
	.section	.rodata,"a",@progbits
	.p2align	6, 0x0
	.amdhsa_kernel _ZL33flash_attn_stream_k_fixup_uniformILi128ELi2ELi1EEvPfPK15HIP_vector_typeIfLj2EEiiiiiiS1_IjLj3EES5_S5_
		.amdhsa_group_segment_fixed_size 0
		.amdhsa_private_segment_fixed_size 0
		.amdhsa_kernarg_size 76
		.amdhsa_user_sgpr_count 2
		.amdhsa_user_sgpr_dispatch_ptr 0
		.amdhsa_user_sgpr_queue_ptr 0
		.amdhsa_user_sgpr_kernarg_segment_ptr 1
		.amdhsa_user_sgpr_dispatch_id 0
		.amdhsa_user_sgpr_kernarg_preload_length 0
		.amdhsa_user_sgpr_kernarg_preload_offset 0
		.amdhsa_user_sgpr_private_segment_size 0
		.amdhsa_wavefront_size32 1
		.amdhsa_uses_dynamic_stack 0
		.amdhsa_enable_private_segment 0
		.amdhsa_system_sgpr_workgroup_id_x 1
		.amdhsa_system_sgpr_workgroup_id_y 1
		.amdhsa_system_sgpr_workgroup_id_z 1
		.amdhsa_system_sgpr_workgroup_info 0
		.amdhsa_system_vgpr_workitem_id 0
		.amdhsa_next_free_vgpr 12
		.amdhsa_next_free_sgpr 21
		.amdhsa_named_barrier_count 0
		.amdhsa_reserve_vcc 1
		.amdhsa_float_round_mode_32 0
		.amdhsa_float_round_mode_16_64 0
		.amdhsa_float_denorm_mode_32 3
		.amdhsa_float_denorm_mode_16_64 3
		.amdhsa_fp16_overflow 0
		.amdhsa_memory_ordered 1
		.amdhsa_forward_progress 1
		.amdhsa_inst_pref_size 9
		.amdhsa_round_robin_scheduling 0
		.amdhsa_exception_fp_ieee_invalid_op 0
		.amdhsa_exception_fp_denorm_src 0
		.amdhsa_exception_fp_ieee_div_zero 0
		.amdhsa_exception_fp_ieee_overflow 0
		.amdhsa_exception_fp_ieee_underflow 0
		.amdhsa_exception_fp_ieee_inexact 0
		.amdhsa_exception_int_div_zero 0
	.end_amdhsa_kernel
	.section	.text._ZL33flash_attn_stream_k_fixup_uniformILi128ELi2ELi1EEvPfPK15HIP_vector_typeIfLj2EEiiiiiiS1_IjLj3EES5_S5_,"axG",@progbits,_ZL33flash_attn_stream_k_fixup_uniformILi128ELi2ELi1EEvPfPK15HIP_vector_typeIfLj2EEiiiiiiS1_IjLj3EES5_S5_,comdat
.Lfunc_end20:
	.size	_ZL33flash_attn_stream_k_fixup_uniformILi128ELi2ELi1EEvPfPK15HIP_vector_typeIfLj2EEiiiiiiS1_IjLj3EES5_S5_, .Lfunc_end20-_ZL33flash_attn_stream_k_fixup_uniformILi128ELi2ELi1EEvPfPK15HIP_vector_typeIfLj2EEiiiiiiS1_IjLj3EES5_S5_
                                        ; -- End function
	.set _ZL33flash_attn_stream_k_fixup_uniformILi128ELi2ELi1EEvPfPK15HIP_vector_typeIfLj2EEiiiiiiS1_IjLj3EES5_S5_.num_vgpr, 12
	.set _ZL33flash_attn_stream_k_fixup_uniformILi128ELi2ELi1EEvPfPK15HIP_vector_typeIfLj2EEiiiiiiS1_IjLj3EES5_S5_.num_agpr, 0
	.set _ZL33flash_attn_stream_k_fixup_uniformILi128ELi2ELi1EEvPfPK15HIP_vector_typeIfLj2EEiiiiiiS1_IjLj3EES5_S5_.numbered_sgpr, 21
	.set _ZL33flash_attn_stream_k_fixup_uniformILi128ELi2ELi1EEvPfPK15HIP_vector_typeIfLj2EEiiiiiiS1_IjLj3EES5_S5_.num_named_barrier, 0
	.set _ZL33flash_attn_stream_k_fixup_uniformILi128ELi2ELi1EEvPfPK15HIP_vector_typeIfLj2EEiiiiiiS1_IjLj3EES5_S5_.private_seg_size, 0
	.set _ZL33flash_attn_stream_k_fixup_uniformILi128ELi2ELi1EEvPfPK15HIP_vector_typeIfLj2EEiiiiiiS1_IjLj3EES5_S5_.uses_vcc, 1
	.set _ZL33flash_attn_stream_k_fixup_uniformILi128ELi2ELi1EEvPfPK15HIP_vector_typeIfLj2EEiiiiiiS1_IjLj3EES5_S5_.uses_flat_scratch, 0
	.set _ZL33flash_attn_stream_k_fixup_uniformILi128ELi2ELi1EEvPfPK15HIP_vector_typeIfLj2EEiiiiiiS1_IjLj3EES5_S5_.has_dyn_sized_stack, 0
	.set _ZL33flash_attn_stream_k_fixup_uniformILi128ELi2ELi1EEvPfPK15HIP_vector_typeIfLj2EEiiiiiiS1_IjLj3EES5_S5_.has_recursion, 0
	.set _ZL33flash_attn_stream_k_fixup_uniformILi128ELi2ELi1EEvPfPK15HIP_vector_typeIfLj2EEiiiiiiS1_IjLj3EES5_S5_.has_indirect_call, 0
	.section	.AMDGPU.csdata,"",@progbits
; Kernel info:
; codeLenInByte = 1080
; TotalNumSgprs: 23
; NumVgprs: 12
; ScratchSize: 0
; MemoryBound: 0
; FloatMode: 240
; IeeeMode: 1
; LDSByteSize: 0 bytes/workgroup (compile time only)
; SGPRBlocks: 0
; VGPRBlocks: 0
; NumSGPRsForWavesPerEU: 23
; NumVGPRsForWavesPerEU: 12
; NamedBarCnt: 0
; Occupancy: 16
; WaveLimiterHint : 0
; COMPUTE_PGM_RSRC2:SCRATCH_EN: 0
; COMPUTE_PGM_RSRC2:USER_SGPR: 2
; COMPUTE_PGM_RSRC2:TRAP_HANDLER: 0
; COMPUTE_PGM_RSRC2:TGID_X_EN: 1
; COMPUTE_PGM_RSRC2:TGID_Y_EN: 1
; COMPUTE_PGM_RSRC2:TGID_Z_EN: 1
; COMPUTE_PGM_RSRC2:TIDIG_COMP_CNT: 0
	.section	.text._ZL33flash_attn_stream_k_fixup_generalILi128ELi2ELi1EEvPfPK15HIP_vector_typeIfLj2EEiiiiS1_IjLj3EES5_S5_S5_,"axG",@progbits,_ZL33flash_attn_stream_k_fixup_generalILi128ELi2ELi1EEvPfPK15HIP_vector_typeIfLj2EEiiiiS1_IjLj3EES5_S5_S5_,comdat
	.globl	_ZL33flash_attn_stream_k_fixup_generalILi128ELi2ELi1EEvPfPK15HIP_vector_typeIfLj2EEiiiiS1_IjLj3EES5_S5_S5_ ; -- Begin function _ZL33flash_attn_stream_k_fixup_generalILi128ELi2ELi1EEvPfPK15HIP_vector_typeIfLj2EEiiiiS1_IjLj3EES5_S5_S5_
	.p2align	8
	.type	_ZL33flash_attn_stream_k_fixup_generalILi128ELi2ELi1EEvPfPK15HIP_vector_typeIfLj2EEiiiiS1_IjLj3EES5_S5_S5_,@function
_ZL33flash_attn_stream_k_fixup_generalILi128ELi2ELi1EEvPfPK15HIP_vector_typeIfLj2EEiiiiS1_IjLj3EES5_S5_S5_: ; @_ZL33flash_attn_stream_k_fixup_generalILi128ELi2ELi1EEvPfPK15HIP_vector_typeIfLj2EEiiiiS1_IjLj3EES5_S5_S5_
; %bb.0:
	s_clause 0x1
	s_load_b128 s[4:7], s[0:1], 0x10
	s_load_b32 s16, s[0:1], 0x50
	s_bfe_u32 s2, ttmp6, 0x4000c
	s_and_b32 s3, ttmp6, 15
	s_add_co_i32 s2, s2, 1
	s_getreg_b32 s15, hwreg(HW_REG_IB_STS2, 6, 4)
	s_mul_i32 s2, ttmp9, s2
	s_mov_b32 s17, 0
	s_add_co_i32 s3, s3, s2
	s_cmp_eq_u32 s15, 0
	s_cselect_b32 s2, ttmp9, s3
	s_delay_alu instid0(SALU_CYCLE_1) | instskip(SKIP_3) | instid1(SALU_CYCLE_1)
	s_ashr_i32 s3, s2, 31
	s_wait_kmcnt 0x0
	s_ashr_i32 s19, s7, 31
	s_mov_b32 s18, s7
	s_mul_u64 s[8:9], s[18:19], s[2:3]
	s_delay_alu instid0(SALU_CYCLE_1) | instskip(NEXT) | instid1(SALU_CYCLE_1)
	s_and_b64 s[10:11], s[8:9], 0xffffffff00000000
	s_cmp_lg_u64 s[10:11], 0
	s_cbranch_scc0 .LBB21_21
; %bb.1:
	s_add_nc_u64 s[10:11], s[16:17], 0
	s_mov_b32 s23, s17
	s_xor_b64 s[10:11], s[10:11], 0
	s_mov_b32 s27, s17
	s_cvt_f32_u32 s3, s10
	s_cvt_f32_u32 s7, s11
	s_sub_nc_u64 s[20:21], 0, s[10:11]
	s_delay_alu instid0(SALU_CYCLE_2) | instskip(NEXT) | instid1(SALU_CYCLE_3)
	s_fmamk_f32 s3, s7, 0x4f800000, s3
	v_s_rcp_f32 s3, s3
	s_delay_alu instid0(TRANS32_DEP_1) | instskip(NEXT) | instid1(SALU_CYCLE_3)
	s_mul_f32 s3, s3, 0x5f7ffffc
	s_mul_f32 s7, s3, 0x2f800000
	s_delay_alu instid0(SALU_CYCLE_3) | instskip(NEXT) | instid1(SALU_CYCLE_3)
	s_trunc_f32 s7, s7
	s_fmamk_f32 s3, s7, 0xcf800000, s3
	s_cvt_u32_f32 s13, s7
	s_delay_alu instid0(SALU_CYCLE_2) | instskip(NEXT) | instid1(SALU_CYCLE_3)
	s_cvt_u32_f32 s12, s3
	s_mul_u64 s[24:25], s[20:21], s[12:13]
	s_delay_alu instid0(SALU_CYCLE_1)
	s_mul_hi_u32 s29, s12, s25
	s_mul_i32 s28, s12, s25
	s_mul_hi_u32 s22, s12, s24
	s_mul_i32 s7, s13, s24
	s_add_nc_u64 s[22:23], s[22:23], s[28:29]
	s_mul_hi_u32 s3, s13, s24
	s_mul_hi_u32 s14, s13, s25
	s_add_co_u32 s7, s22, s7
	s_add_co_ci_u32 s26, s23, s3
	s_mul_i32 s24, s13, s25
	s_add_co_ci_u32 s25, s14, 0
	s_delay_alu instid0(SALU_CYCLE_1) | instskip(SKIP_3) | instid1(SALU_CYCLE_1)
	s_add_nc_u64 s[22:23], s[26:27], s[24:25]
	s_mov_b32 s25, s17
	s_add_co_u32 s12, s12, s22
	s_cselect_b32 s3, -1, 0
	s_cmp_lg_u32 s3, 0
	s_add_co_ci_u32 s13, s13, s23
	s_mov_b32 s23, s17
	s_mul_u64 s[20:21], s[20:21], s[12:13]
	s_delay_alu instid0(SALU_CYCLE_1)
	s_mul_hi_u32 s27, s12, s21
	s_mul_i32 s26, s12, s21
	s_mul_hi_u32 s22, s12, s20
	s_mul_i32 s7, s13, s20
	s_add_nc_u64 s[22:23], s[22:23], s[26:27]
	s_mul_hi_u32 s3, s13, s20
	s_mul_hi_u32 s14, s13, s21
	s_add_co_u32 s7, s22, s7
	s_add_co_ci_u32 s24, s23, s3
	s_mul_i32 s20, s13, s21
	s_add_co_ci_u32 s21, s14, 0
	s_mov_b32 s23, s17
	s_add_nc_u64 s[20:21], s[24:25], s[20:21]
	s_delay_alu instid0(SALU_CYCLE_1) | instskip(SKIP_1) | instid1(SALU_CYCLE_1)
	s_add_co_u32 s3, s12, s20
	s_cselect_b32 s7, -1, 0
	s_cmp_lg_u32 s7, 0
	s_add_co_ci_u32 s7, s13, s21
	s_ashr_i32 s12, s9, 31
	s_delay_alu instid0(SALU_CYCLE_1) | instskip(NEXT) | instid1(SALU_CYCLE_1)
	s_mov_b32 s13, s12
	s_add_nc_u64 s[20:21], s[8:9], s[12:13]
	s_delay_alu instid0(SALU_CYCLE_1) | instskip(NEXT) | instid1(SALU_CYCLE_1)
	s_xor_b64 s[20:21], s[20:21], s[12:13]
	s_mul_hi_u32 s27, s20, s7
	s_mul_i32 s26, s20, s7
	s_mul_hi_u32 s22, s20, s3
	s_mul_hi_u32 s14, s21, s3
	s_mul_i32 s3, s21, s3
	s_add_nc_u64 s[22:23], s[22:23], s[26:27]
	s_mul_hi_u32 s9, s21, s7
	s_add_co_u32 s3, s22, s3
	s_add_co_ci_u32 s24, s23, s14
	s_mul_i32 s26, s21, s7
	s_add_co_ci_u32 s27, s9, 0
	s_delay_alu instid0(SALU_CYCLE_1) | instskip(NEXT) | instid1(SALU_CYCLE_1)
	s_add_nc_u64 s[22:23], s[24:25], s[26:27]
	s_and_b64 s[24:25], s[22:23], 0xffffffff00000000
	s_delay_alu instid0(SALU_CYCLE_1) | instskip(NEXT) | instid1(SALU_CYCLE_1)
	s_or_b32 s24, s24, s22
	s_mul_u64 s[22:23], s[10:11], s[24:25]
	s_add_nc_u64 s[26:27], s[24:25], 1
	s_sub_co_u32 s3, s20, s22
	s_cselect_b32 s7, -1, 0
	s_sub_co_i32 s9, s21, s23
	s_cmp_lg_u32 s7, 0
	s_add_nc_u64 s[28:29], s[24:25], 2
	s_sub_co_ci_u32 s9, s9, s11
	s_sub_co_u32 s14, s3, s10
	s_cselect_b32 s20, -1, 0
	s_delay_alu instid0(SALU_CYCLE_1) | instskip(SKIP_1) | instid1(SALU_CYCLE_1)
	s_cmp_lg_u32 s20, 0
	s_sub_co_ci_u32 s9, s9, 0
	s_cmp_ge_u32 s9, s11
	s_cselect_b32 s20, -1, 0
	s_cmp_ge_u32 s14, s10
	s_cselect_b32 s14, -1, 0
	s_cmp_eq_u32 s9, s11
	s_cselect_b32 s9, s14, s20
	s_delay_alu instid0(SALU_CYCLE_1) | instskip(SKIP_4) | instid1(SALU_CYCLE_1)
	s_cmp_lg_u32 s9, 0
	s_cselect_b32 s9, s28, s26
	s_cselect_b32 s14, s29, s27
	s_cmp_lg_u32 s7, 0
	s_sub_co_ci_u32 s7, s21, s23
	s_cmp_ge_u32 s7, s11
	s_cselect_b32 s20, -1, 0
	s_cmp_ge_u32 s3, s10
	s_cselect_b32 s3, -1, 0
	s_cmp_eq_u32 s7, s11
	s_cselect_b32 s3, s3, s20
	s_delay_alu instid0(SALU_CYCLE_1) | instskip(SKIP_4) | instid1(SALU_CYCLE_1)
	s_cmp_lg_u32 s3, 0
	s_mov_b32 s3, s17
	s_cselect_b32 s11, s14, s25
	s_cselect_b32 s10, s9, s24
	s_xor_b64 s[12:13], s[12:13], 0
	s_xor_b64 s[10:11], s[10:11], s[12:13]
	s_delay_alu instid0(SALU_CYCLE_1)
	s_sub_nc_u64 s[20:21], s[10:11], s[12:13]
	s_and_not1_b32 vcc_lo, exec_lo, s3
	s_cbranch_vccnz .LBB21_3
.LBB21_2:
	v_cvt_f32_u32_e32 v1, s16
	s_sub_co_i32 s7, 0, s16
	s_mov_b32 s21, 0
	s_delay_alu instid0(VALU_DEP_1) | instskip(SKIP_1) | instid1(TRANS32_DEP_1)
	v_rcp_iflag_f32_e32 v1, v1
	v_nop
	v_mul_f32_e32 v1, 0x4f7ffffe, v1
	s_delay_alu instid0(VALU_DEP_1) | instskip(NEXT) | instid1(VALU_DEP_1)
	v_cvt_u32_f32_e32 v1, v1
	v_readfirstlane_b32 s3, v1
	s_mul_i32 s7, s7, s3
	s_delay_alu instid0(SALU_CYCLE_1) | instskip(NEXT) | instid1(SALU_CYCLE_1)
	s_mul_hi_u32 s7, s3, s7
	s_add_co_i32 s3, s3, s7
	s_delay_alu instid0(SALU_CYCLE_1) | instskip(NEXT) | instid1(SALU_CYCLE_1)
	s_mul_hi_u32 s3, s8, s3
	s_mul_i32 s7, s3, s16
	s_delay_alu instid0(SALU_CYCLE_1)
	s_sub_co_i32 s7, s8, s7
	s_add_co_i32 s8, s3, 1
	s_sub_co_i32 s9, s7, s16
	s_cmp_ge_u32 s7, s16
	s_cselect_b32 s3, s8, s3
	s_cselect_b32 s7, s9, s7
	s_add_co_i32 s8, s3, 1
	s_cmp_ge_u32 s7, s16
	s_cselect_b32 s20, s8, s3
.LBB21_3:
	s_add_co_i32 s8, s2, 1
	s_delay_alu instid0(SALU_CYCLE_1) | instskip(NEXT) | instid1(SALU_CYCLE_1)
	s_ashr_i32 s9, s8, 31
	s_mul_u64 s[8:9], s[18:19], s[8:9]
	s_delay_alu instid0(SALU_CYCLE_1) | instskip(NEXT) | instid1(SALU_CYCLE_1)
	s_and_b64 s[10:11], s[8:9], 0xffffffff00000000
	s_cmp_lg_u64 s[10:11], 0
	s_cbranch_scc0 .LBB21_22
; %bb.4:
	s_add_nc_u64 s[10:11], s[16:17], 0
	s_delay_alu instid0(SALU_CYCLE_1) | instskip(SKIP_4) | instid1(SALU_CYCLE_2)
	s_xor_b64 s[12:13], s[10:11], 0
	s_mov_b32 s11, 0
	s_cvt_f32_u32 s3, s12
	s_cvt_f32_u32 s7, s13
	s_sub_nc_u64 s[24:25], 0, s[12:13]
	s_fmamk_f32 s3, s7, 0x4f800000, s3
	s_delay_alu instid0(SALU_CYCLE_3) | instskip(NEXT) | instid1(TRANS32_DEP_1)
	v_s_rcp_f32 s3, s3
	s_mul_f32 s3, s3, 0x5f7ffffc
	s_delay_alu instid0(SALU_CYCLE_3) | instskip(NEXT) | instid1(SALU_CYCLE_3)
	s_mul_f32 s7, s3, 0x2f800000
	s_trunc_f32 s7, s7
	s_delay_alu instid0(SALU_CYCLE_3) | instskip(SKIP_1) | instid1(SALU_CYCLE_2)
	s_fmamk_f32 s3, s7, 0xcf800000, s3
	s_cvt_u32_f32 s23, s7
	s_cvt_u32_f32 s22, s3
	s_delay_alu instid0(SALU_CYCLE_3) | instskip(NEXT) | instid1(SALU_CYCLE_1)
	s_mul_u64 s[26:27], s[24:25], s[22:23]
	s_mul_hi_u32 s29, s22, s27
	s_mul_i32 s28, s22, s27
	s_mul_hi_u32 s10, s22, s26
	s_mul_i32 s7, s23, s26
	s_add_nc_u64 s[28:29], s[10:11], s[28:29]
	s_mul_hi_u32 s3, s23, s26
	s_mul_hi_u32 s14, s23, s27
	s_add_co_u32 s7, s28, s7
	s_add_co_ci_u32 s10, s29, s3
	s_mul_i32 s26, s23, s27
	s_add_co_ci_u32 s27, s14, 0
	s_delay_alu instid0(SALU_CYCLE_1) | instskip(NEXT) | instid1(SALU_CYCLE_1)
	s_add_nc_u64 s[26:27], s[10:11], s[26:27]
	s_add_co_u32 s22, s22, s26
	s_cselect_b32 s3, -1, 0
	s_delay_alu instid0(SALU_CYCLE_1) | instskip(SKIP_1) | instid1(SALU_CYCLE_1)
	s_cmp_lg_u32 s3, 0
	s_add_co_ci_u32 s23, s23, s27
	s_mul_u64 s[24:25], s[24:25], s[22:23]
	s_delay_alu instid0(SALU_CYCLE_1)
	s_mul_hi_u32 s27, s22, s25
	s_mul_i32 s26, s22, s25
	s_mul_hi_u32 s10, s22, s24
	s_mul_i32 s7, s23, s24
	s_add_nc_u64 s[26:27], s[10:11], s[26:27]
	s_mul_hi_u32 s3, s23, s24
	s_mul_hi_u32 s14, s23, s25
	s_add_co_u32 s7, s26, s7
	s_add_co_ci_u32 s10, s27, s3
	s_mul_i32 s24, s23, s25
	s_add_co_ci_u32 s25, s14, 0
	s_delay_alu instid0(SALU_CYCLE_1) | instskip(NEXT) | instid1(SALU_CYCLE_1)
	s_add_nc_u64 s[24:25], s[10:11], s[24:25]
	s_add_co_u32 s3, s22, s24
	s_cselect_b32 s7, -1, 0
	s_delay_alu instid0(SALU_CYCLE_1) | instskip(SKIP_2) | instid1(SALU_CYCLE_1)
	s_cmp_lg_u32 s7, 0
	s_add_co_ci_u32 s7, s23, s25
	s_ashr_i32 s22, s9, 31
	s_mov_b32 s23, s22
	s_delay_alu instid0(SALU_CYCLE_1) | instskip(NEXT) | instid1(SALU_CYCLE_1)
	s_add_nc_u64 s[24:25], s[8:9], s[22:23]
	s_xor_b64 s[24:25], s[24:25], s[22:23]
	s_delay_alu instid0(SALU_CYCLE_1)
	s_mul_hi_u32 s27, s24, s7
	s_mul_i32 s26, s24, s7
	s_mul_hi_u32 s10, s24, s3
	s_mul_hi_u32 s14, s25, s3
	s_mul_i32 s3, s25, s3
	s_add_nc_u64 s[26:27], s[10:11], s[26:27]
	s_mul_hi_u32 s9, s25, s7
	s_add_co_u32 s3, s26, s3
	s_add_co_ci_u32 s10, s27, s14
	s_mul_i32 s28, s25, s7
	s_add_co_ci_u32 s29, s9, 0
	s_delay_alu instid0(SALU_CYCLE_1) | instskip(NEXT) | instid1(SALU_CYCLE_1)
	s_add_nc_u64 s[26:27], s[10:11], s[28:29]
	s_and_b64 s[28:29], s[26:27], 0xffffffff00000000
	s_delay_alu instid0(SALU_CYCLE_1) | instskip(NEXT) | instid1(SALU_CYCLE_1)
	s_or_b32 s28, s28, s26
	s_mul_u64 s[26:27], s[12:13], s[28:29]
	s_add_nc_u64 s[30:31], s[28:29], 1
	s_sub_co_u32 s3, s24, s26
	s_cselect_b32 s7, -1, 0
	s_sub_co_i32 s9, s25, s27
	s_cmp_lg_u32 s7, 0
	s_add_nc_u64 s[34:35], s[28:29], 2
	s_sub_co_ci_u32 s9, s9, s13
	s_sub_co_u32 s10, s3, s12
	s_cselect_b32 s14, -1, 0
	s_delay_alu instid0(SALU_CYCLE_1) | instskip(SKIP_1) | instid1(SALU_CYCLE_1)
	s_cmp_lg_u32 s14, 0
	s_sub_co_ci_u32 s9, s9, 0
	s_cmp_ge_u32 s9, s13
	s_cselect_b32 s14, -1, 0
	s_cmp_ge_u32 s10, s12
	s_cselect_b32 s10, -1, 0
	s_cmp_eq_u32 s9, s13
	s_cselect_b32 s9, s10, s14
	s_delay_alu instid0(SALU_CYCLE_1) | instskip(SKIP_4) | instid1(SALU_CYCLE_1)
	s_cmp_lg_u32 s9, 0
	s_cselect_b32 s9, s34, s30
	s_cselect_b32 s10, s35, s31
	s_cmp_lg_u32 s7, 0
	s_sub_co_ci_u32 s7, s25, s27
	s_cmp_ge_u32 s7, s13
	s_cselect_b32 s14, -1, 0
	s_cmp_ge_u32 s3, s12
	s_cselect_b32 s3, -1, 0
	s_cmp_eq_u32 s7, s13
	s_cselect_b32 s3, s3, s14
	s_delay_alu instid0(SALU_CYCLE_1) | instskip(SKIP_3) | instid1(SALU_CYCLE_1)
	s_cmp_lg_u32 s3, 0
	s_cselect_b32 s13, s10, s29
	s_cselect_b32 s12, s9, s28
	s_xor_b64 s[22:23], s[22:23], 0
	s_xor_b64 s[12:13], s[12:13], s[22:23]
	s_delay_alu instid0(SALU_CYCLE_1)
	s_sub_nc_u64 s[24:25], s[12:13], s[22:23]
	s_load_b96 s[12:14], s[0:1], 0x44
	s_cbranch_execnz .LBB21_6
.LBB21_5:
	v_cvt_f32_u32_e32 v1, s16
	s_sub_co_i32 s7, 0, s16
	s_delay_alu instid0(VALU_DEP_1) | instskip(SKIP_1) | instid1(TRANS32_DEP_1)
	v_rcp_iflag_f32_e32 v1, v1
	v_nop
	v_mul_f32_e32 v1, 0x4f7ffffe, v1
	s_delay_alu instid0(VALU_DEP_1) | instskip(NEXT) | instid1(VALU_DEP_1)
	v_cvt_u32_f32_e32 v1, v1
	v_readfirstlane_b32 s3, v1
	s_mul_i32 s7, s7, s3
	s_delay_alu instid0(SALU_CYCLE_1) | instskip(NEXT) | instid1(SALU_CYCLE_1)
	s_mul_hi_u32 s7, s3, s7
	s_add_co_i32 s3, s3, s7
	s_delay_alu instid0(SALU_CYCLE_1) | instskip(NEXT) | instid1(SALU_CYCLE_1)
	s_mul_hi_u32 s3, s8, s3
	s_mul_i32 s7, s3, s16
	s_delay_alu instid0(SALU_CYCLE_1)
	s_sub_co_i32 s7, s8, s7
	s_add_co_i32 s8, s3, 1
	s_sub_co_i32 s9, s7, s16
	s_cmp_ge_u32 s7, s16
	s_cselect_b32 s3, s8, s3
	s_cselect_b32 s7, s9, s7
	s_add_co_i32 s8, s3, 1
	s_cmp_ge_u32 s7, s16
	s_cselect_b32 s24, s8, s3
.LBB21_6:
	s_delay_alu instid0(SALU_CYCLE_1)
	s_cmp_eq_u32 s20, s24
	s_mov_b64 s[8:9], 0xffffffff
	s_cselect_b32 s3, -1, 0
	s_and_b64 s[8:9], s[20:21], s[8:9]
	s_mov_b32 s23, 0
	s_wait_kmcnt 0x0
	s_mov_b32 s22, s12
	s_mov_b32 s25, s23
	s_mul_u64 s[10:11], s[8:9], s[22:23]
	s_delay_alu instid0(SALU_CYCLE_1) | instskip(SKIP_2) | instid1(SALU_CYCLE_1)
	s_add_co_i32 s7, s11, s20
	s_mul_u64 s[10:11], s[24:25], s[22:23]
	s_lshr_b32 s12, s7, s13
	s_mul_i32 s7, s12, s14
	s_delay_alu instid0(SALU_CYCLE_1) | instskip(SKIP_2) | instid1(SALU_CYCLE_1)
	s_cmp_eq_u32 s7, s20
	s_cselect_b32 s7, -1, 0
	s_add_co_i32 s10, s11, s24
	s_lshr_b32 s10, s10, s13
	s_delay_alu instid0(SALU_CYCLE_1)
	s_cmp_eq_u32 s12, s10
	s_mul_i32 s10, s10, s14
	s_cselect_b32 s11, -1, 0
	s_cmp_lg_u32 s10, s24
	s_cselect_b32 s10, -1, 0
	s_or_b32 s3, s3, s7
	s_and_b32 s10, s11, s10
	s_delay_alu instid0(SALU_CYCLE_1) | instskip(NEXT) | instid1(SALU_CYCLE_1)
	s_or_b32 s3, s3, s10
	s_and_b32 vcc_lo, exec_lo, s3
	s_cbranch_vccnz .LBB21_24
; %bb.7:
	s_load_b256 s[24:31], s[0:1], 0x20
	s_bfe_u32 s7, ttmp6, 0x40014
	s_bfe_u32 s33, ttmp6, 0x40010
	s_lshr_b32 s3, ttmp7, 16
	s_add_co_i32 s7, s7, 1
	s_and_b32 s21, ttmp7, 0xffff
	s_add_co_i32 s33, s33, 1
	s_bfe_u32 s10, ttmp6, 0x40008
	s_mul_i32 s7, s3, s7
	s_bfe_u32 s34, ttmp6, 0x40004
	s_mul_i32 s33, s21, s33
	s_mov_b32 s11, s23
	s_add_co_i32 s7, s10, s7
	s_add_co_i32 s34, s34, s33
	s_cmp_eq_u32 s15, 0
	s_cselect_b32 s15, s21, s34
	s_cselect_b32 s3, s3, s7
	s_wait_kmcnt 0x0
	s_mov_b32 s10, s24
	s_delay_alu instid0(SALU_CYCLE_1) | instskip(SKIP_2) | instid1(SALU_CYCLE_1)
	s_mul_u64 s[8:9], s[8:9], s[10:11]
	s_load_b32 s8, s[0:1], 0x40
	s_add_co_i32 s7, s9, s20
	s_lshr_b32 s7, s7, s25
	s_delay_alu instid0(SALU_CYCLE_1) | instskip(NEXT) | instid1(SALU_CYCLE_1)
	s_mul_i32 s9, s7, s26
	s_sub_co_i32 s9, s20, s9
	s_delay_alu instid0(SALU_CYCLE_1) | instskip(NEXT) | instid1(SALU_CYCLE_1)
	s_mul_hi_u32 s10, s9, s27
	s_add_co_i32 s10, s9, s10
	s_delay_alu instid0(SALU_CYCLE_1) | instskip(NEXT) | instid1(SALU_CYCLE_1)
	s_lshr_b32 s21, s10, s28
	s_mul_i32 s10, s21, s29
	s_delay_alu instid0(SALU_CYCLE_1) | instskip(NEXT) | instid1(SALU_CYCLE_1)
	s_sub_co_i32 s10, s9, s10
	s_mul_hi_u32 s9, s10, s30
	s_delay_alu instid0(SALU_CYCLE_1) | instskip(NEXT) | instid1(SALU_CYCLE_1)
	s_add_co_i32 s9, s10, s9
	s_lshr_b32 s24, s9, s31
	s_mov_b32 s9, s23
	s_wait_kmcnt 0x0
	s_mul_i32 s8, s24, s8
	s_delay_alu instid0(SALU_CYCLE_1) | instskip(NEXT) | instid1(SALU_CYCLE_1)
	s_sub_co_i32 s8, s10, s8
	s_mul_u64 s[10:11], s[8:9], s[22:23]
	s_delay_alu instid0(SALU_CYCLE_1) | instskip(NEXT) | instid1(SALU_CYCLE_1)
	s_add_co_i32 s8, s8, s11
	s_lshr_b32 s25, s8, s13
	s_delay_alu instid0(SALU_CYCLE_1) | instskip(NEXT) | instid1(SALU_CYCLE_1)
	s_lshl_b32 s8, s25, 1
	s_add_co_i32 s8, s8, s15
	s_delay_alu instid0(SALU_CYCLE_1) | instskip(SKIP_2) | instid1(SALU_CYCLE_1)
	s_cmp_lt_i32 s8, s4
	s_cselect_b32 s8, -1, 0
	s_add_co_i32 s9, s24, s3
	s_cmp_lt_i32 s9, s6
	s_cselect_b32 s9, -1, 0
	s_delay_alu instid0(SALU_CYCLE_1) | instskip(NEXT) | instid1(SALU_CYCLE_1)
	s_and_b32 s8, s8, s9
	s_and_not1_b32 vcc_lo, exec_lo, s8
	s_cbranch_vccnz .LBB21_24
; %bb.8:
	s_mul_i32 s4, s7, s4
	s_load_b128 s[8:11], s[0:1], 0x0
	s_wait_xcnt 0x0
	s_add_co_i32 s0, s4, s15
	s_mul_i32 s21, s21, s6
	s_mul_i32 s0, s0, s5
	;; [unrolled: 1-line block ×3, first 2 shown]
	s_add_co_i32 s0, s0, s3
	s_lshl_b32 s1, s1, 8
	s_add_co_i32 s0, s0, s21
	s_add_co_i32 s15, s15, s3
	;; [unrolled: 1-line block ×3, first 2 shown]
	v_lshl_or_b32 v6, s15, 7, v0
	s_lshl_b32 s0, s0, 7
	v_cvt_f32_u32_e32 v4, s16
	s_add_co_i32 s1, s1, s0
	s_lshl_b32 s24, s16, 3
	v_or_b32_e32 v2, s1, v0
	s_add_nc_u64 s[0:1], s[16:17], 0
	v_rcp_iflag_f32_e32 v4, v4
	s_xor_b64 s[6:7], s[0:1], 0
	s_lshl_b32 s0, s2, 1
	s_cvt_f32_u32 s3, s6
	s_add_co_i32 s0, s0, s15
	s_cvt_f32_u32 s4, s7
	s_ashr_i32 s1, s0, 31
	s_mov_b32 s25, 0
	s_lshl_b64 s[0:1], s[0:1], 3
	s_fmamk_f32 s3, s4, 0x4f800000, s3
	s_wait_kmcnt 0x0
	s_add_nc_u64 s[0:1], s[10:11], s[0:1]
	s_add_co_i32 s36, s2, -1
	s_load_b64 s[28:29], s[0:1], 0x0
	v_s_rcp_f32 s3, s3
	s_wait_xcnt 0x0
	s_lshl_b64 s[0:1], s[24:25], 2
	s_sub_nc_u64 s[34:35], 0, s[6:7]
	s_add_nc_u64 s[26:27], s[10:11], s[0:1]
	v_mul_f32_e32 v4, 0x4f7ffffe, v4
	s_delay_alu instid0(TRANS32_DEP_1) | instskip(NEXT) | instid1(VALU_DEP_1)
	s_mul_f32 s3, s3, 0x5f7ffffc
	v_cvt_u32_f32_e32 v7, v4
	s_delay_alu instid0(SALU_CYCLE_2) | instskip(NEXT) | instid1(SALU_CYCLE_3)
	s_mul_f32 s4, s3, 0x2f800000
	s_trunc_f32 s4, s4
	s_wait_kmcnt 0x0
	v_mov_b32_e32 v0, s29
	global_load_b32 v1, v2, s[8:9] scale_offset
	v_ashrrev_i32_e32 v3, 31, v2
	s_fmamk_f32 s0, s4, 0xcf800000, s3
	s_cvt_u32_f32 s31, s4
	s_wait_xcnt 0x0
	s_delay_alu instid0(VALU_DEP_1)
	v_lshl_add_u64 v[2:3], v[2:3], 2, s[8:9]
	s_cvt_u32_f32 s30, s0
	s_mov_b64 s[8:9], 0xffffffff
.LBB21_9:                               ; =>This Inner Loop Header: Depth=1
	s_ashr_i32 s37, s36, 31
                                        ; implicit-def: $sgpr40_sgpr41
	s_delay_alu instid0(SALU_CYCLE_1) | instskip(NEXT) | instid1(SALU_CYCLE_1)
	s_mul_u64 s[0:1], s[36:37], s[18:19]
	s_and_b64 s[2:3], s[0:1], 0xffffffff00000000
	s_delay_alu instid0(SALU_CYCLE_1)
	s_cmp_lg_u64 s[2:3], 0
	s_mov_b32 s2, -1
	s_cbranch_scc0 .LBB21_11
; %bb.10:                               ;   in Loop: Header=BB21_9 Depth=1
	s_mul_u64 s[2:3], s[34:35], s[30:31]
	s_delay_alu instid0(SALU_CYCLE_1)
	s_mul_hi_u32 s5, s30, s3
	s_mul_i32 s4, s30, s3
	s_mul_hi_u32 s24, s30, s2
	s_mul_hi_u32 s17, s31, s2
	s_add_nc_u64 s[4:5], s[24:25], s[4:5]
	s_mul_i32 s2, s31, s2
	s_mul_hi_u32 s21, s31, s3
	s_add_co_u32 s2, s4, s2
	s_add_co_ci_u32 s24, s5, s17
	s_add_co_ci_u32 s5, s21, 0
	s_mul_i32 s4, s31, s3
	s_delay_alu instid0(SALU_CYCLE_1) | instskip(NEXT) | instid1(SALU_CYCLE_1)
	s_add_nc_u64 s[2:3], s[24:25], s[4:5]
	s_add_co_u32 s2, s30, s2
	s_cselect_b32 s4, -1, 0
	s_delay_alu instid0(SALU_CYCLE_1) | instskip(SKIP_1) | instid1(SALU_CYCLE_1)
	s_cmp_lg_u32 s4, 0
	s_add_co_ci_u32 s3, s31, s3
	s_mul_u64 s[4:5], s[34:35], s[2:3]
	s_delay_alu instid0(SALU_CYCLE_1)
	s_mul_hi_u32 s39, s2, s5
	s_mul_i32 s38, s2, s5
	s_mul_hi_u32 s24, s2, s4
	s_mul_hi_u32 s17, s3, s4
	s_mul_i32 s4, s3, s4
	s_add_nc_u64 s[38:39], s[24:25], s[38:39]
	s_mul_hi_u32 s21, s3, s5
	s_add_co_u32 s4, s38, s4
	s_add_co_ci_u32 s24, s39, s17
	s_mul_i32 s4, s3, s5
	s_add_co_ci_u32 s5, s21, 0
	s_delay_alu instid0(SALU_CYCLE_1) | instskip(NEXT) | instid1(SALU_CYCLE_1)
	s_add_nc_u64 s[4:5], s[24:25], s[4:5]
	s_add_co_u32 s17, s2, s4
	s_cselect_b32 s2, -1, 0
	s_delay_alu instid0(SALU_CYCLE_1) | instskip(SKIP_2) | instid1(SALU_CYCLE_1)
	s_cmp_lg_u32 s2, 0
	s_add_co_ci_u32 s21, s3, s5
	s_ashr_i32 s2, s1, 31
	s_mov_b32 s3, s2
	s_delay_alu instid0(SALU_CYCLE_1) | instskip(NEXT) | instid1(SALU_CYCLE_1)
	s_add_nc_u64 s[4:5], s[0:1], s[2:3]
	s_xor_b64 s[4:5], s[4:5], s[2:3]
	s_delay_alu instid0(SALU_CYCLE_1)
	s_mul_hi_u32 s39, s4, s21
	s_mul_i32 s38, s4, s21
	s_mul_hi_u32 s24, s4, s17
	s_mul_hi_u32 s29, s5, s17
	s_mul_i32 s17, s5, s17
	s_add_nc_u64 s[38:39], s[24:25], s[38:39]
	s_mul_hi_u32 s1, s5, s21
	s_add_co_u32 s17, s38, s17
	s_add_co_ci_u32 s24, s39, s29
	s_mul_i32 s40, s5, s21
	s_add_co_ci_u32 s41, s1, 0
	s_delay_alu instid0(SALU_CYCLE_1) | instskip(NEXT) | instid1(SALU_CYCLE_1)
	s_add_nc_u64 s[38:39], s[24:25], s[40:41]
	s_and_b64 s[40:41], s[38:39], 0xffffffff00000000
	s_delay_alu instid0(SALU_CYCLE_1) | instskip(NEXT) | instid1(SALU_CYCLE_1)
	s_or_b32 s40, s40, s38
	s_mul_u64 s[38:39], s[6:7], s[40:41]
	s_add_nc_u64 s[42:43], s[40:41], 1
	s_sub_co_u32 s1, s4, s38
	s_cselect_b32 s4, -1, 0
	s_sub_co_i32 s17, s5, s39
	s_cmp_lg_u32 s4, 0
	s_add_nc_u64 s[44:45], s[40:41], 2
	s_sub_co_ci_u32 s17, s17, s7
	s_sub_co_u32 s21, s1, s6
	s_cselect_b32 s24, -1, 0
	s_delay_alu instid0(SALU_CYCLE_1) | instskip(SKIP_1) | instid1(SALU_CYCLE_1)
	s_cmp_lg_u32 s24, 0
	s_sub_co_ci_u32 s17, s17, 0
	s_cmp_ge_u32 s17, s7
	s_cselect_b32 s24, -1, 0
	s_cmp_ge_u32 s21, s6
	s_cselect_b32 s21, -1, 0
	s_cmp_eq_u32 s17, s7
	s_cselect_b32 s17, s21, s24
	s_delay_alu instid0(SALU_CYCLE_1) | instskip(SKIP_4) | instid1(SALU_CYCLE_1)
	s_cmp_lg_u32 s17, 0
	s_cselect_b32 s17, s44, s42
	s_cselect_b32 s21, s45, s43
	s_cmp_lg_u32 s4, 0
	s_sub_co_ci_u32 s4, s5, s39
	s_cmp_ge_u32 s4, s7
	s_cselect_b32 s5, -1, 0
	s_cmp_ge_u32 s1, s6
	s_cselect_b32 s1, -1, 0
	s_cmp_eq_u32 s4, s7
	s_cselect_b32 s1, s1, s5
	s_delay_alu instid0(SALU_CYCLE_1) | instskip(SKIP_3) | instid1(SALU_CYCLE_1)
	s_cmp_lg_u32 s1, 0
	s_cselect_b32 s5, s21, s41
	s_cselect_b32 s4, s17, s40
	s_xor_b64 s[2:3], s[2:3], 0
	s_xor_b64 s[4:5], s[4:5], s[2:3]
	s_delay_alu instid0(SALU_CYCLE_1)
	s_sub_nc_u64 s[40:41], s[4:5], s[2:3]
	s_mov_b32 s2, 0
.LBB21_11:                              ;   in Loop: Header=BB21_9 Depth=1
	s_delay_alu instid0(SALU_CYCLE_1)
	s_and_not1_b32 vcc_lo, exec_lo, s2
	s_cbranch_vccnz .LBB21_13
; %bb.12:                               ;   in Loop: Header=BB21_9 Depth=1
	v_readfirstlane_b32 s1, v7
	s_sub_co_i32 s2, 0, s16
	s_delay_alu instid0(SALU_CYCLE_1) | instskip(NEXT) | instid1(SALU_CYCLE_1)
	s_mul_i32 s2, s2, s1
	s_mul_hi_u32 s2, s1, s2
	s_delay_alu instid0(SALU_CYCLE_1) | instskip(NEXT) | instid1(SALU_CYCLE_1)
	s_add_co_i32 s1, s1, s2
	s_mul_hi_u32 s1, s0, s1
	s_delay_alu instid0(SALU_CYCLE_1) | instskip(NEXT) | instid1(SALU_CYCLE_1)
	s_mul_i32 s2, s1, s16
	s_sub_co_i32 s0, s0, s2
	s_add_co_i32 s2, s1, 1
	s_sub_co_i32 s3, s0, s16
	s_cmp_ge_u32 s0, s16
	s_cselect_b32 s1, s2, s1
	s_cselect_b32 s0, s3, s0
	s_add_co_i32 s2, s1, 1
	s_cmp_ge_u32 s0, s16
	s_cselect_b32 s24, s2, s1
	s_delay_alu instid0(SALU_CYCLE_1)
	s_mov_b64 s[40:41], s[24:25]
.LBB21_13:                              ;   in Loop: Header=BB21_9 Depth=1
	s_delay_alu instid0(SALU_CYCLE_1)
	s_cmp_lg_u32 s20, s40
	s_mov_b32 s0, -1
                                        ; implicit-def: $vgpr4_vgpr5
                                        ; implicit-def: $sgpr24
                                        ; implicit-def: $sgpr17
                                        ; implicit-def: $sgpr21
                                        ; implicit-def: $sgpr29
	s_cbranch_scc0 .LBB21_18
; %bb.14:                               ;   in Loop: Header=BB21_9 Depth=1
	s_add_co_i32 s0, s36, s16
	v_max_num_f32_e64 v4, s28, s28
	s_lshl_b32 s0, s0, 1
	s_mov_b32 s29, s20
	s_add_co_i32 s0, s0, s15
	s_load_b64 s[38:39], s[10:11], s0 offset:0x0 scale_offset
	s_wait_xcnt 0x0
	v_readfirstlane_b32 s0, v4
	s_wait_kmcnt 0x0
	v_max_num_f32_e64 v5, s38, s38
	s_delay_alu instid0(VALU_DEP_1) | instskip(SKIP_1) | instid1(SALU_CYCLE_3)
	v_readfirstlane_b32 s1, v5
	s_max_num_f32 s17, s0, s1
	s_sub_f32 s33, s28, s17
	s_sub_f32 s37, s38, s17
	s_delay_alu instid0(SALU_CYCLE_2)
	s_cmp_nlt_f32 s33, 0xc2ce8ed0
	s_cselect_b32 s1, -1, 0
	s_cmp_ngt_f32 s33, 0x42b17218
	s_cselect_b32 s2, -1, 0
	s_cmp_ge_f32 s33, 0xc1a00000
	s_cselect_b32 s0, -1, 0
	s_cmp_nlt_f32 s37, 0xc2ce8ed0
	s_cselect_b32 s3, -1, 0
	s_cmp_ngt_f32 s37, 0x42b17218
	s_cselect_b32 s4, -1, 0
	s_cmp_ge_f32 s37, 0xc1a00000
	s_cselect_b32 s5, -1, 0
	s_and_b64 s[42:43], s[40:41], s[8:9]
	s_delay_alu instid0(SALU_CYCLE_1) | instskip(NEXT) | instid1(SALU_CYCLE_1)
	s_mul_u64 s[42:43], s[42:43], s[22:23]
	s_add_co_i32 s21, s43, s40
	s_delay_alu instid0(SALU_CYCLE_1) | instskip(NEXT) | instid1(SALU_CYCLE_1)
	s_lshr_b32 s21, s21, s13
	s_mul_i32 s24, s21, s14
	s_delay_alu instid0(SALU_CYCLE_1) | instskip(SKIP_3) | instid1(SALU_CYCLE_1)
	s_cmp_eq_u32 s24, s40
	s_cselect_b32 s24, -1, 0
	s_cmp_lt_u32 s21, s12
	s_cselect_b32 s21, -1, 0
	s_or_b32 s21, s21, s24
	s_mov_b32 s24, -1
	s_and_b32 vcc_lo, exec_lo, s21
	s_mov_b32 s21, s36
	s_cbranch_vccnz .LBB21_16
; %bb.15:                               ;   in Loop: Header=BB21_9 Depth=1
	s_add_co_i32 s21, s36, -1
	s_mov_b32 s24, 0
	s_mov_b32 s29, s40
.LBB21_16:                              ;   in Loop: Header=BB21_9 Depth=1
	v_lshl_add_u32 v4, s36, 8, v6
	s_mul_f32 s40, s33, 0x3fb8aa3b
	s_mul_f32 s38, s37, 0x3fb8aa3b
	s_delay_alu instid0(SALU_CYCLE_2)
	s_xor_b32 s42, s40, 0x80000000
	global_load_b32 v5, v4, s[26:27] scale_offset
	s_fmamk_f32 s42, s33, 0x3fb8aa3b, s42
	s_rndne_f32 s44, s40
	s_xor_b32 s41, s38, 0x80000000
	s_rndne_f32 s43, s38
	s_fmamk_f32 s33, s33, 0x32a5705f, s42
	s_sub_f32 s40, s40, s44
	s_fmamk_f32 s41, s37, 0x3fb8aa3b, s41
	s_sub_f32 s38, s38, s43
	s_delay_alu instid0(SALU_CYCLE_1) | instskip(NEXT) | instid1(SALU_CYCLE_1)
	s_add_f32 s33, s40, s33
	s_fmamk_f32 s37, s37, 0x32a5705f, s41
	s_cvt_i32_f32 s40, s44
	s_delay_alu instid0(SALU_CYCLE_1) | instskip(NEXT) | instid1(SALU_CYCLE_1)
	v_s_exp_f32 s33, s33
	s_add_f32 s37, s38, s37
	s_cvt_i32_f32 s38, s43
	s_delay_alu instid0(SALU_CYCLE_2) | instskip(NEXT) | instid1(TRANS32_DEP_2)
	v_s_exp_f32 s37, s37
	v_ldexp_f32 v8, s33, s40
	s_wait_xcnt 0x0
	s_delay_alu instid0(TRANS32_DEP_1) | instskip(NEXT) | instid1(VALU_DEP_2)
	v_ldexp_f32 v4, s37, s38
	v_cndmask_b32_e64 v8, 0, v8, s1
	s_delay_alu instid0(VALU_DEP_1) | instskip(NEXT) | instid1(VALU_DEP_1)
	v_cndmask_b32_e64 v9, 0x7f800000, v8, s2
	v_dual_cndmask_b32 v4, 0, v4, s3 :: v_dual_cndmask_b32 v10, 0, v9, s0
	s_delay_alu instid0(VALU_DEP_1) | instskip(NEXT) | instid1(VALU_DEP_1)
	v_cndmask_b32_e64 v4, 0x7f800000, v4, s4
	v_dual_cndmask_b32 v8, 0, v4, s5 :: v_dual_mov_b32 v4, s39
	s_wait_loadcnt 0x0
	s_delay_alu instid0(VALU_DEP_1) | instskip(NEXT) | instid1(VALU_DEP_1)
	v_pk_mul_f32 v[4:5], v[4:5], v[8:9] op_sel_hi:[1,0]
	v_pk_fma_f32 v[4:5], v[0:1], v[10:11], v[4:5] op_sel_hi:[1,0,1]
	s_cbranch_execz .LBB21_19
.LBB21_17:                              ;   in Loop: Header=BB21_9 Depth=1
	s_and_not1_b32 vcc_lo, exec_lo, s24
	s_cbranch_vccnz .LBB21_20
	s_branch .LBB21_23
.LBB21_18:                              ;   in Loop: Header=BB21_9 Depth=1
	s_and_not1_b32 vcc_lo, exec_lo, s0
	s_cbranch_vccnz .LBB21_17
.LBB21_19:                              ;   in Loop: Header=BB21_9 Depth=1
	s_wait_loadcnt 0x0
	v_mov_b64_e32 v[4:5], v[0:1]
	s_add_co_i32 s21, s36, -1
	s_mov_b32 s29, s20
	s_mov_b32 s17, s28
	s_cbranch_execz .LBB21_23
.LBB21_20:                              ;   in Loop: Header=BB21_9 Depth=1
	s_wait_loadcnt 0x0
	s_delay_alu instid0(VALU_DEP_1)
	v_mov_b64_e32 v[0:1], v[4:5]
	s_mov_b32 s20, s29
	s_mov_b32 s36, s21
	;; [unrolled: 1-line block ×3, first 2 shown]
	s_branch .LBB21_9
.LBB21_21:
                                        ; implicit-def: $sgpr20_sgpr21
	s_branch .LBB21_2
.LBB21_22:
                                        ; implicit-def: $sgpr24_sgpr25
	s_load_b96 s[12:14], s[0:1], 0x44
	s_branch .LBB21_5
.LBB21_23:
	s_delay_alu instid0(VALU_DEP_1) | instskip(SKIP_1) | instid1(VALU_DEP_1)
	v_div_scale_f32 v0, null, v4, v4, v5
	s_wait_loadcnt 0x0
	v_rcp_f32_e32 v1, v0
	v_nop
	s_delay_alu instid0(TRANS32_DEP_1) | instskip(NEXT) | instid1(VALU_DEP_1)
	v_fma_f32 v6, -v0, v1, 1.0
	v_fmac_f32_e32 v1, v6, v1
	v_div_scale_f32 v6, vcc_lo, v5, v4, v5
	s_delay_alu instid0(VALU_DEP_1) | instskip(NEXT) | instid1(VALU_DEP_1)
	v_mul_f32_e32 v7, v6, v1
	v_fma_f32 v8, -v0, v7, v6
	s_delay_alu instid0(VALU_DEP_1) | instskip(NEXT) | instid1(VALU_DEP_1)
	v_fmac_f32_e32 v7, v8, v1
	v_fma_f32 v0, -v0, v7, v6
	s_delay_alu instid0(VALU_DEP_1) | instskip(NEXT) | instid1(VALU_DEP_1)
	v_div_fmas_f32 v0, v0, v1, v7
	v_div_fixup_f32 v0, v0, v4, v5
	global_store_b32 v[2:3], v0, off
.LBB21_24:
	s_endpgm
	.section	.rodata,"a",@progbits
	.p2align	6, 0x0
	.amdhsa_kernel _ZL33flash_attn_stream_k_fixup_generalILi128ELi2ELi1EEvPfPK15HIP_vector_typeIfLj2EEiiiiS1_IjLj3EES5_S5_S5_
		.amdhsa_group_segment_fixed_size 0
		.amdhsa_private_segment_fixed_size 0
		.amdhsa_kernarg_size 336
		.amdhsa_user_sgpr_count 2
		.amdhsa_user_sgpr_dispatch_ptr 0
		.amdhsa_user_sgpr_queue_ptr 0
		.amdhsa_user_sgpr_kernarg_segment_ptr 1
		.amdhsa_user_sgpr_dispatch_id 0
		.amdhsa_user_sgpr_kernarg_preload_length 0
		.amdhsa_user_sgpr_kernarg_preload_offset 0
		.amdhsa_user_sgpr_private_segment_size 0
		.amdhsa_wavefront_size32 1
		.amdhsa_uses_dynamic_stack 0
		.amdhsa_enable_private_segment 0
		.amdhsa_system_sgpr_workgroup_id_x 1
		.amdhsa_system_sgpr_workgroup_id_y 1
		.amdhsa_system_sgpr_workgroup_id_z 1
		.amdhsa_system_sgpr_workgroup_info 0
		.amdhsa_system_vgpr_workitem_id 0
		.amdhsa_next_free_vgpr 12
		.amdhsa_next_free_sgpr 46
		.amdhsa_named_barrier_count 0
		.amdhsa_reserve_vcc 1
		.amdhsa_float_round_mode_32 0
		.amdhsa_float_round_mode_16_64 0
		.amdhsa_float_denorm_mode_32 3
		.amdhsa_float_denorm_mode_16_64 3
		.amdhsa_fp16_overflow 0
		.amdhsa_memory_ordered 1
		.amdhsa_forward_progress 1
		.amdhsa_inst_pref_size 27
		.amdhsa_round_robin_scheduling 0
		.amdhsa_exception_fp_ieee_invalid_op 0
		.amdhsa_exception_fp_denorm_src 0
		.amdhsa_exception_fp_ieee_div_zero 0
		.amdhsa_exception_fp_ieee_overflow 0
		.amdhsa_exception_fp_ieee_underflow 0
		.amdhsa_exception_fp_ieee_inexact 0
		.amdhsa_exception_int_div_zero 0
	.end_amdhsa_kernel
	.section	.text._ZL33flash_attn_stream_k_fixup_generalILi128ELi2ELi1EEvPfPK15HIP_vector_typeIfLj2EEiiiiS1_IjLj3EES5_S5_S5_,"axG",@progbits,_ZL33flash_attn_stream_k_fixup_generalILi128ELi2ELi1EEvPfPK15HIP_vector_typeIfLj2EEiiiiS1_IjLj3EES5_S5_S5_,comdat
.Lfunc_end21:
	.size	_ZL33flash_attn_stream_k_fixup_generalILi128ELi2ELi1EEvPfPK15HIP_vector_typeIfLj2EEiiiiS1_IjLj3EES5_S5_S5_, .Lfunc_end21-_ZL33flash_attn_stream_k_fixup_generalILi128ELi2ELi1EEvPfPK15HIP_vector_typeIfLj2EEiiiiS1_IjLj3EES5_S5_S5_
                                        ; -- End function
	.set _ZL33flash_attn_stream_k_fixup_generalILi128ELi2ELi1EEvPfPK15HIP_vector_typeIfLj2EEiiiiS1_IjLj3EES5_S5_S5_.num_vgpr, 12
	.set _ZL33flash_attn_stream_k_fixup_generalILi128ELi2ELi1EEvPfPK15HIP_vector_typeIfLj2EEiiiiS1_IjLj3EES5_S5_S5_.num_agpr, 0
	.set _ZL33flash_attn_stream_k_fixup_generalILi128ELi2ELi1EEvPfPK15HIP_vector_typeIfLj2EEiiiiS1_IjLj3EES5_S5_S5_.numbered_sgpr, 46
	.set _ZL33flash_attn_stream_k_fixup_generalILi128ELi2ELi1EEvPfPK15HIP_vector_typeIfLj2EEiiiiS1_IjLj3EES5_S5_S5_.num_named_barrier, 0
	.set _ZL33flash_attn_stream_k_fixup_generalILi128ELi2ELi1EEvPfPK15HIP_vector_typeIfLj2EEiiiiS1_IjLj3EES5_S5_S5_.private_seg_size, 0
	.set _ZL33flash_attn_stream_k_fixup_generalILi128ELi2ELi1EEvPfPK15HIP_vector_typeIfLj2EEiiiiS1_IjLj3EES5_S5_S5_.uses_vcc, 1
	.set _ZL33flash_attn_stream_k_fixup_generalILi128ELi2ELi1EEvPfPK15HIP_vector_typeIfLj2EEiiiiS1_IjLj3EES5_S5_S5_.uses_flat_scratch, 0
	.set _ZL33flash_attn_stream_k_fixup_generalILi128ELi2ELi1EEvPfPK15HIP_vector_typeIfLj2EEiiiiS1_IjLj3EES5_S5_S5_.has_dyn_sized_stack, 0
	.set _ZL33flash_attn_stream_k_fixup_generalILi128ELi2ELi1EEvPfPK15HIP_vector_typeIfLj2EEiiiiS1_IjLj3EES5_S5_S5_.has_recursion, 0
	.set _ZL33flash_attn_stream_k_fixup_generalILi128ELi2ELi1EEvPfPK15HIP_vector_typeIfLj2EEiiiiS1_IjLj3EES5_S5_S5_.has_indirect_call, 0
	.section	.AMDGPU.csdata,"",@progbits
; Kernel info:
; codeLenInByte = 3352
; TotalNumSgprs: 48
; NumVgprs: 12
; ScratchSize: 0
; MemoryBound: 0
; FloatMode: 240
; IeeeMode: 1
; LDSByteSize: 0 bytes/workgroup (compile time only)
; SGPRBlocks: 0
; VGPRBlocks: 0
; NumSGPRsForWavesPerEU: 48
; NumVGPRsForWavesPerEU: 12
; NamedBarCnt: 0
; Occupancy: 16
; WaveLimiterHint : 0
; COMPUTE_PGM_RSRC2:SCRATCH_EN: 0
; COMPUTE_PGM_RSRC2:USER_SGPR: 2
; COMPUTE_PGM_RSRC2:TRAP_HANDLER: 0
; COMPUTE_PGM_RSRC2:TGID_X_EN: 1
; COMPUTE_PGM_RSRC2:TGID_Y_EN: 1
; COMPUTE_PGM_RSRC2:TGID_Z_EN: 1
; COMPUTE_PGM_RSRC2:TIDIG_COMP_CNT: 0
	.section	.text._ZL18flash_attn_ext_vecILi128ELi2EL9ggml_type1ELS0_1ELb1EEvPKcS2_S2_S2_S2_PKiPfP15HIP_vector_typeIfLj2EEffffjfiS6_IjLj3EEiiiiiiiiiiiliiliiiiil,"axG",@progbits,_ZL18flash_attn_ext_vecILi128ELi2EL9ggml_type1ELS0_1ELb1EEvPKcS2_S2_S2_S2_PKiPfP15HIP_vector_typeIfLj2EEffffjfiS6_IjLj3EEiiiiiiiiiiiliiliiiiil,comdat
	.globl	_ZL18flash_attn_ext_vecILi128ELi2EL9ggml_type1ELS0_1ELb1EEvPKcS2_S2_S2_S2_PKiPfP15HIP_vector_typeIfLj2EEffffjfiS6_IjLj3EEiiiiiiiiiiiliiliiiiil ; -- Begin function _ZL18flash_attn_ext_vecILi128ELi2EL9ggml_type1ELS0_1ELb1EEvPKcS2_S2_S2_S2_PKiPfP15HIP_vector_typeIfLj2EEffffjfiS6_IjLj3EEiiiiiiiiiiiliiliiiiil
	.p2align	8
	.type	_ZL18flash_attn_ext_vecILi128ELi2EL9ggml_type1ELS0_1ELb1EEvPKcS2_S2_S2_S2_PKiPfP15HIP_vector_typeIfLj2EEffffjfiS6_IjLj3EEiiiiiiiiiiiliiliiiiil,@function
_ZL18flash_attn_ext_vecILi128ELi2EL9ggml_type1ELS0_1ELb1EEvPKcS2_S2_S2_S2_PKiPfP15HIP_vector_typeIfLj2EEffffjfiS6_IjLj3EEiiiiiiiiiiiliiliiiiil: ; @_ZL18flash_attn_ext_vecILi128ELi2EL9ggml_type1ELS0_1ELb1EEvPKcS2_S2_S2_S2_PKiPfP15HIP_vector_typeIfLj2EEffffjfiS6_IjLj3EEiiiiiiiiiiiliiliiiiil
; %bb.0:
	s_clause 0x2
	s_load_b64 s[28:29], s[2:3], 0x64
	s_load_b64 s[40:41], s[2:3], 0x80
	s_load_b64 s[36:37], s[2:3], 0xb8
	s_bfe_u32 s6, ttmp6, 0x40014
	s_lshr_b32 s5, ttmp7, 16
	s_add_co_i32 s6, s6, 1
	s_bfe_u32 s7, ttmp6, 0x40008
	s_mul_i32 s6, s5, s6
	s_getreg_b32 s31, hwreg(HW_REG_IB_STS2, 6, 4)
	s_add_co_i32 s7, s7, s6
	s_clause 0x1
	s_load_b128 s[20:23], s[2:3], 0x40
	s_load_b64 s[26:27], s[2:3], 0x50
	v_mov_b32_e32 v81, 1.0
	s_mov_b32 s39, 0
	s_wait_kmcnt 0x0
	s_cvt_f32_u32 s4, s29
	s_sub_co_i32 s8, 0, s29
	s_delay_alu instid0(SALU_CYCLE_2) | instskip(SKIP_1) | instid1(TRANS32_DEP_1)
	v_rcp_iflag_f32_e32 v1, s4
	v_nop
	v_readfirstlane_b32 s4, v1
	s_mul_f32 s4, s4, 0x4f7ffffe
	s_delay_alu instid0(SALU_CYCLE_3) | instskip(NEXT) | instid1(SALU_CYCLE_3)
	s_cvt_u32_f32 s4, s4
	s_mul_i32 s8, s8, s4
	s_delay_alu instid0(SALU_CYCLE_1) | instskip(NEXT) | instid1(SALU_CYCLE_1)
	s_mul_hi_u32 s8, s4, s8
	s_add_co_i32 s4, s4, s8
	s_cmp_eq_u32 s31, 0
	s_cselect_b32 s5, s5, s7
	s_delay_alu instid0(SALU_CYCLE_1) | instskip(NEXT) | instid1(SALU_CYCLE_1)
	s_mul_hi_u32 s4, s5, s4
	s_mul_i32 s6, s4, s29
	s_add_co_i32 s7, s4, 1
	s_sub_co_i32 s6, s5, s6
	s_delay_alu instid0(SALU_CYCLE_1)
	s_sub_co_i32 s8, s6, s29
	s_cmp_ge_u32 s6, s29
	s_cselect_b32 s4, s7, s4
	s_cselect_b32 s6, s8, s6
	s_add_co_i32 s7, s4, 1
	s_cmp_ge_u32 s6, s29
	s_cselect_b32 s30, s7, s4
	s_abs_i32 s4, s41
	s_abs_i32 s9, s29
	s_cvt_f32_u32 s6, s4
	s_sub_co_i32 s7, 0, s4
	s_xor_b32 s8, s29, s41
	s_delay_alu instid0(SALU_CYCLE_1) | instskip(SKIP_2) | instid1(TRANS32_DEP_1)
	v_rcp_iflag_f32_e32 v1, s6
	s_ashr_i32 s8, s8, 31
	v_nop
	v_readfirstlane_b32 s6, v1
	s_mul_f32 s6, s6, 0x4f7ffffe
	s_delay_alu instid0(SALU_CYCLE_3) | instskip(NEXT) | instid1(SALU_CYCLE_3)
	s_cvt_u32_f32 s6, s6
	s_mul_i32 s7, s7, s6
	s_delay_alu instid0(SALU_CYCLE_1) | instskip(NEXT) | instid1(SALU_CYCLE_1)
	s_mul_hi_u32 s7, s6, s7
	s_add_co_i32 s6, s6, s7
	s_mul_i32 s7, s30, s29
	s_mul_hi_u32 s6, s9, s6
	s_sub_co_i32 s33, s5, s7
	s_mul_i32 s10, s6, s4
	s_add_co_i32 s7, s6, 1
	s_sub_co_i32 s5, s9, s10
	s_delay_alu instid0(SALU_CYCLE_1)
	s_sub_co_i32 s9, s5, s4
	s_cmp_ge_u32 s5, s4
	s_cselect_b32 s6, s7, s6
	s_cselect_b32 s5, s9, s5
	s_add_co_i32 s7, s6, 1
	s_cmp_ge_u32 s5, s4
	s_cselect_b32 s4, s7, s6
	s_abs_i32 s36, s36
	s_xor_b32 s4, s4, s8
	s_delay_alu instid0(SALU_CYCLE_1)
	s_sub_co_i32 s34, s4, s8
	s_cvt_f32_u32 s4, s36
	s_abs_i32 s41, s34
	s_cmp_le_f32 s21, 0
	s_cvt_f32_u32 s5, s41
	v_rcp_iflag_f32_e32 v1, s4
	s_delay_alu instid0(SALU_CYCLE_2) | instskip(NEXT) | instid1(TRANS32_DEP_2)
	v_rcp_iflag_f32_e32 v2, s5
	v_readfirstlane_b32 s21, v1
	s_delay_alu instid0(TRANS32_DEP_1)
	v_readfirstlane_b32 s35, v2
	s_cbranch_scc1 .LBB22_2
; %bb.1:
	v_sub_co_u32 v1, s4, s33, s26
	s_and_b32 s6, s4, exec_lo
	s_cselect_b32 s6, s22, s23
	s_add_co_i32 s7, s33, 1
	v_readfirstlane_b32 s5, v1
	s_lshl_b32 s5, s5, 1
	s_delay_alu instid0(SALU_CYCLE_1) | instskip(SKIP_4) | instid1(SALU_CYCLE_3)
	s_or_b32 s5, s5, 1
	s_and_b32 s4, s4, exec_lo
	s_cselect_b32 s4, s7, s5
	s_cmp_neq_f32 s6, 1.0
	s_cvt_f32_i32 s4, s4
	s_cselect_b32 s5, s4, 1.0
	s_delay_alu instid0(SALU_CYCLE_1) | instskip(SKIP_1) | instid1(SALU_CYCLE_1)
	s_cmp_neq_f32 s5, 0
	s_cselect_b32 s4, s6, 1.0
	v_cvt_f64_f32_e64 v[2:3], |s4|
	s_delay_alu instid0(VALU_DEP_1) | instskip(SKIP_1) | instid1(VALU_DEP_1)
	v_frexp_exp_i32_f64_e32 v1, v[2:3]
	v_frexp_mant_f32_e64 v2, |s4|
	v_readfirstlane_b32 s6, v2
	s_cmp_lt_f32 s6, 0x3f2aaaab
	s_cselect_b32 vcc_lo, -1, 0
	s_delay_alu instid0(SALU_CYCLE_1) | instskip(SKIP_1) | instid1(SALU_CYCLE_1)
	s_and_b32 s7, vcc_lo, exec_lo
	s_cselect_b32 s7, 2.0, 1.0
	s_mul_f32 s6, s6, s7
	s_delay_alu instid0(SALU_CYCLE_3) | instskip(SKIP_1) | instid1(SALU_CYCLE_2)
	s_add_f32 s7, s6, 1.0
	s_add_f32 s9, s6, -1.0
	v_s_rcp_f32 s8, s7
	s_add_f32 s12, s7, -1.0
	v_subrev_co_ci_u32_e64 v1, null, 0, v1, vcc_lo
	s_delay_alu instid0(SALU_CYCLE_2) | instskip(NEXT) | instid1(TRANS32_DEP_1)
	s_sub_f32 s6, s6, s12
	s_mul_f32 s10, s9, s8
	v_cvt_f32_i32_e32 v1, v1
	s_delay_alu instid0(SALU_CYCLE_2) | instskip(NEXT) | instid1(SALU_CYCLE_3)
	s_mul_f32 s11, s7, s10
	v_dual_mov_b32 v3, s9 :: v_dual_mov_b32 v4, s11
	s_xor_b32 s13, s11, 0x80000000
	s_delay_alu instid0(SALU_CYCLE_1) | instskip(NEXT) | instid1(SALU_CYCLE_3)
	s_fmac_f32 s13, s10, s7
	s_fmac_f32 s13, s10, s6
	s_delay_alu instid0(SALU_CYCLE_3) | instskip(SKIP_2) | instid1(SALU_CYCLE_1)
	s_add_f32 s6, s11, s13
	v_mov_b32_e32 v6, s13
	s_mov_b32 s11, 0x3e76c4e1
	s_sub_f32 s7, s9, s6
	v_dual_mov_b32 v2, s6 :: v_dual_mov_b32 v7, s6
	s_delay_alu instid0(SALU_CYCLE_2) | instskip(NEXT) | instid1(VALU_DEP_1)
	v_mov_b32_e32 v5, s7
	v_pk_add_f32 v[2:3], v[2:3], v[4:5] neg_lo:[0,1] neg_hi:[0,1]
	s_delay_alu instid0(VALU_DEP_1) | instskip(NEXT) | instid1(VALU_DEP_1)
	v_pk_add_f32 v[2:3], v[2:3], v[6:7] neg_lo:[0,1] neg_hi:[0,1]
	v_readfirstlane_b32 s6, v3
	s_delay_alu instid0(VALU_DEP_2) | instskip(SKIP_1) | instid1(SALU_CYCLE_3)
	v_readfirstlane_b32 s9, v2
	s_add_f32 s6, s9, s6
	s_add_f32 s6, s7, s6
	s_delay_alu instid0(SALU_CYCLE_3) | instskip(NEXT) | instid1(SALU_CYCLE_3)
	s_mul_f32 s7, s8, s6
	s_add_f32 s6, s10, s7
	s_delay_alu instid0(SALU_CYCLE_3) | instskip(SKIP_1) | instid1(SALU_CYCLE_2)
	s_sub_f32 s8, s6, s10
	s_mul_f32 s9, s6, s6
	s_sub_f32 s10, s7, s8
	s_delay_alu instid0(SALU_CYCLE_2) | instskip(NEXT) | instid1(SALU_CYCLE_1)
	s_xor_b32 s7, s9, 0x80000000
	s_fmac_f32 s7, s6, s6
	s_delay_alu instid0(SALU_CYCLE_1) | instskip(NEXT) | instid1(SALU_CYCLE_3)
	s_add_f32 s8, s10, s10
	s_fmac_f32 s7, s6, s8
	s_delay_alu instid0(SALU_CYCLE_3) | instskip(NEXT) | instid1(SALU_CYCLE_3)
	s_add_f32 s8, s9, s7
	s_fmaak_f32 s11, s8, s11, 0x3e91f4c4
	s_sub_f32 s9, s8, s9
	s_delay_alu instid0(SALU_CYCLE_2) | instskip(NEXT) | instid1(SALU_CYCLE_2)
	s_fmaak_f32 s11, s8, s11, 0x3ecccdef
	s_sub_f32 s14, s7, s9
	s_delay_alu instid0(SALU_CYCLE_2) | instskip(NEXT) | instid1(SALU_CYCLE_3)
	s_mul_f32 s12, s8, s11
	s_xor_b32 s13, s12, 0x80000000
	s_delay_alu instid0(SALU_CYCLE_1) | instskip(NEXT) | instid1(SALU_CYCLE_3)
	s_fmac_f32 s13, s8, s11
	s_fmac_f32 s13, s14, s11
	s_delay_alu instid0(SALU_CYCLE_3) | instskip(NEXT) | instid1(SALU_CYCLE_3)
	s_add_f32 s9, s12, s13
	s_sub_f32 s7, s9, s12
	s_add_f32 s11, s9, 0x3f2aaaaa
	s_delay_alu instid0(SALU_CYCLE_2) | instskip(NEXT) | instid1(SALU_CYCLE_2)
	s_sub_f32 s7, s13, s7
	s_add_f32 s12, s11, 0xbf2aaaaa
	s_delay_alu instid0(SALU_CYCLE_2) | instskip(NEXT) | instid1(SALU_CYCLE_2)
	s_add_f32 s7, s7, 0x31739010
	s_sub_f32 s9, s9, s12
	s_delay_alu instid0(SALU_CYCLE_2) | instskip(NEXT) | instid1(SALU_CYCLE_2)
	v_mov_b64_e32 v[2:3], s[6:7]
	v_mov_b64_e32 v[4:5], s[8:9]
	s_delay_alu instid0(VALU_DEP_1) | instskip(SKIP_2) | instid1(VALU_DEP_3)
	v_pk_mul_f32 v[6:7], v[2:3], v[4:5]
	v_pk_add_f32 v[2:3], v[2:3], v[4:5]
	v_mov_b32_e32 v9, s11
	v_xor_b32_e32 v8, 0x80000000, v6
	s_delay_alu instid0(VALU_DEP_3) | instskip(NEXT) | instid1(VALU_DEP_2)
	v_mov_b32_e32 v7, v3
	v_fmac_f32_e64 v8, s8, s6
	s_delay_alu instid0(VALU_DEP_1) | instskip(NEXT) | instid1(VALU_DEP_1)
	v_fmac_f32_e64 v8, s8, s10
	v_fmac_f32_e64 v8, s14, s6
	s_delay_alu instid0(VALU_DEP_1) | instskip(NEXT) | instid1(VALU_DEP_1)
	v_pk_add_f32 v[4:5], v[6:7], v[8:9]
	v_dual_mov_b32 v2, v5 :: v_dual_sub_f32 v7, s11, v5
	v_mul_f32_e32 v12, 0x3f317218, v1
	s_delay_alu instid0(VALU_DEP_2) | instskip(NEXT) | instid1(VALU_DEP_3)
	v_pk_mul_f32 v[10:11], v[4:5], v[2:3]
	v_add_f32_e32 v3, v3, v7
	s_delay_alu instid0(VALU_DEP_3) | instskip(NEXT) | instid1(VALU_DEP_3)
	v_xor_b32_e32 v7, 0x80000000, v12
	v_xor_b32_e32 v2, 0x80000000, v10
	s_delay_alu instid0(VALU_DEP_2) | instskip(NEXT) | instid1(VALU_DEP_2)
	v_dual_sub_f32 v6, v4, v6 :: v_dual_fmac_f32 v7, 0x3f317218, v1
	v_fmac_f32_e32 v2, v4, v5
	s_delay_alu instid0(VALU_DEP_2) | instskip(NEXT) | instid1(VALU_DEP_2)
	v_sub_f32_e32 v6, v8, v6
	v_fmac_f32_e32 v2, v4, v3
	s_delay_alu instid0(VALU_DEP_1) | instskip(SKIP_3) | instid1(VALU_DEP_2)
	v_fmac_f32_e32 v2, v6, v5
	v_fmamk_f32 v4, v1, 0xb102e308, v7
	v_ldexp_f32 v5, s6, 1
	v_ldexp_f32 v1, s10, 1
	v_dual_add_f32 v13, v10, v2 :: v_dual_mov_b32 v11, v5
	s_delay_alu instid0(VALU_DEP_1) | instskip(SKIP_1) | instid1(VALU_DEP_2)
	v_pk_add_f32 v[6:7], v[12:13], v[4:5]
	v_dual_mov_b32 v8, v13 :: v_dual_mov_b32 v3, v13
	v_dual_mov_b32 v9, v7 :: v_dual_mov_b32 v5, v6
	v_mov_b32_e32 v14, v7
	s_delay_alu instid0(VALU_DEP_2) | instskip(NEXT) | instid1(VALU_DEP_1)
	v_pk_add_f32 v[8:9], v[8:9], v[10:11] neg_lo:[0,1] neg_hi:[0,1]
	v_pk_add_f32 v[2:3], v[2:3], v[8:9] neg_lo:[0,1] neg_hi:[0,1]
	s_delay_alu instid0(VALU_DEP_1) | instskip(NEXT) | instid1(VALU_DEP_1)
	v_add_f32_e32 v1, v1, v2
	v_add_f32_e32 v13, v1, v3
	s_delay_alu instid0(VALU_DEP_1) | instskip(SKIP_1) | instid1(VALU_DEP_2)
	v_pk_add_f32 v[2:3], v[6:7], v[12:13]
	v_pk_add_f32 v[8:9], v[6:7], v[12:13] neg_lo:[0,1] neg_hi:[0,1]
	v_mov_b32_e32 v9, v3
	s_delay_alu instid0(VALU_DEP_1) | instskip(SKIP_2) | instid1(VALU_DEP_3)
	v_pk_add_f32 v[10:11], v[4:5], v[8:9]
	v_pk_add_f32 v[4:5], v[4:5], v[8:9] neg_lo:[0,1] neg_hi:[0,1]
	v_dual_mov_b32 v16, v3 :: v_dual_mov_b32 v5, v6
	v_dual_mov_b32 v12, v11 :: v_dual_mov_b32 v17, v11
	s_delay_alu instid0(VALU_DEP_3) | instskip(NEXT) | instid1(VALU_DEP_2)
	v_readfirstlane_b32 s6, v4
	v_pk_add_f32 v[8:9], v[12:13], v[6:7] neg_lo:[0,1] neg_hi:[0,1]
	s_delay_alu instid0(VALU_DEP_2) | instskip(NEXT) | instid1(VALU_DEP_2)
	v_dual_mov_b32 v4, v13 :: v_dual_mov_b32 v10, s6
	v_dual_mov_b32 v15, v8 :: v_dual_mov_b32 v1, v8
	s_delay_alu instid0(VALU_DEP_1) | instskip(NEXT) | instid1(VALU_DEP_2)
	v_pk_add_f32 v[6:7], v[16:17], v[14:15] neg_lo:[0,1] neg_hi:[0,1]
	v_pk_add_f32 v[2:3], v[2:3], v[0:1] neg_lo:[0,1] neg_hi:[0,1]
	v_mov_b32_e32 v2, s6
	s_delay_alu instid0(VALU_DEP_3) | instskip(NEXT) | instid1(VALU_DEP_1)
	v_pk_add_f32 v[4:5], v[4:5], v[6:7] neg_lo:[0,1] neg_hi:[0,1]
	v_pk_add_f32 v[2:3], v[2:3], v[4:5]
	s_delay_alu instid0(VALU_DEP_1) | instskip(NEXT) | instid1(VALU_DEP_2)
	v_readfirstlane_b32 s7, v2
	v_mov_b32_e32 v6, v3
	s_delay_alu instid0(VALU_DEP_1) | instskip(NEXT) | instid1(VALU_DEP_3)
	v_pk_add_f32 v[6:7], v[2:3], v[6:7]
	v_mov_b32_e32 v2, s7
	s_delay_alu instid0(VALU_DEP_2) | instskip(SKIP_1) | instid1(VALU_DEP_2)
	v_pk_add_f32 v[8:9], v[12:13], v[6:7]
	v_mov_b32_e32 v5, v6
	v_readfirstlane_b32 s8, v8
	s_delay_alu instid0(VALU_DEP_1) | instskip(NEXT) | instid1(VALU_DEP_1)
	v_mov_b32_e32 v3, s8
	v_pk_add_f32 v[2:3], v[2:3], v[10:11] neg_lo:[0,1] neg_hi:[0,1]
	s_delay_alu instid0(VALU_DEP_1) | instskip(NEXT) | instid1(VALU_DEP_2)
	v_readfirstlane_b32 s9, v2
	v_pk_add_f32 v[2:3], v[4:5], v[2:3] neg_lo:[0,1] neg_hi:[0,1]
	s_sub_f32 s7, s7, s9
	s_delay_alu instid0(VALU_DEP_1) | instskip(NEXT) | instid1(SALU_CYCLE_2)
	v_readfirstlane_b32 s9, v2
	s_sub_f32 s6, s6, s7
	v_readfirstlane_b32 s7, v3
	s_delay_alu instid0(SALU_CYCLE_2) | instskip(NEXT) | instid1(SALU_CYCLE_3)
	s_add_f32 s6, s9, s6
	s_add_f32 s6, s6, s7
	s_delay_alu instid0(SALU_CYCLE_3) | instskip(NEXT) | instid1(SALU_CYCLE_3)
	s_add_f32 s7, s8, s6
	s_mul_f32 s9, s5, s7
	s_sub_f32 s8, s7, s8
	s_delay_alu instid0(SALU_CYCLE_2) | instskip(NEXT) | instid1(SALU_CYCLE_2)
	s_xor_b32 s10, s9, 0x80000000
	s_sub_f32 s6, s6, s8
	s_fmac_f32 s10, s5, s7
	s_delay_alu instid0(SALU_CYCLE_3) | instskip(SKIP_1) | instid1(SALU_CYCLE_2)
	s_fmac_f32 s10, s5, s6
	v_cmp_class_f32_e64 s6, s9, 0x204
	s_add_f32 s7, s9, s10
	s_and_b32 s6, s6, exec_lo
	s_delay_alu instid0(SALU_CYCLE_2) | instskip(SKIP_1) | instid1(SALU_CYCLE_1)
	s_sub_f32 s6, s7, s9
	s_cselect_b32 s7, s9, s7
	s_and_b32 s8, s7, 0x7fffffff
	s_delay_alu instid0(SALU_CYCLE_1) | instskip(SKIP_1) | instid1(SALU_CYCLE_2)
	s_sub_f32 s6, s10, s6
	s_cmp_neq_f32 s8, 0x7f800000
	s_cselect_b32 s6, s6, 0
	s_cmp_eq_f32 s7, 0x42b17218
	s_cselect_b32 s8, 0x37000000, 0
	s_delay_alu instid0(SALU_CYCLE_1) | instskip(SKIP_1) | instid1(SALU_CYCLE_2)
	s_sub_f32 s7, s7, s8
	s_add_f32 s6, s8, s6
	s_mul_f32 s9, s7, 0x3fb8aa3b
	s_delay_alu instid0(SALU_CYCLE_3) | instskip(SKIP_3) | instid1(SALU_CYCLE_1)
	s_xor_b32 s10, s9, 0x80000000
	s_rndne_f32 s11, s9
	s_fmamk_f32 s10, s7, 0x3fb8aa3b, s10
	s_cmp_nlt_f32 s7, 0xc2ce8ed0
	s_sub_f32 s9, s9, s11
	s_delay_alu instid0(SALU_CYCLE_1)
	s_fmamk_f32 s10, s7, 0x32a5705f, s10
	s_cselect_b32 vcc_lo, -1, 0
	s_cmp_ngt_f32 s7, 0x42b17218
	s_trunc_f32 s7, s5
	s_add_f32 s9, s9, s10
	s_cvt_i32_f32 s10, s11
	s_delay_alu instid0(SALU_CYCLE_2)
	v_s_exp_f32 s9, s9
	v_nop
	s_delay_alu instid0(TRANS32_DEP_1) | instid1(SALU_CYCLE_1)
	v_ldexp_f32 v1, s9, s10
	s_mul_f32 s9, s5, 0.5
	s_delay_alu instid0(VALU_DEP_1) | instskip(SKIP_3) | instid1(VALU_DEP_1)
	v_cndmask_b32_e32 v1, 0, v1, vcc_lo
	s_cselect_b32 vcc_lo, -1, 0
	s_cmp_eq_f32 s7, s5
	s_trunc_f32 s10, s9
	v_cndmask_b32_e32 v1, 0x7f800000, v1, vcc_lo
	s_cselect_b32 s11, -1, 0
	s_delay_alu instid0(SALU_CYCLE_1) | instskip(NEXT) | instid1(VALU_DEP_1)
	s_cmp_neq_f32 s10, s9
	v_fma_f32 v2, s6, v1, v1
	v_cmp_class_f32_e64 vcc_lo, v1, 0x204
	s_cselect_b32 s8, -1, 0
	s_delay_alu instid0(SALU_CYCLE_1)
	s_and_b32 s6, s11, s8
	v_cndmask_b32_e32 v1, v2, v1, vcc_lo
	s_and_b32 s8, s6, exec_lo
	s_cselect_b32 s8, s4, 1.0
	s_cmp_eq_f32 s7, s5
	v_cmp_class_f32_e64 s7, s4, 0x204
	v_bfi_b32 v1, 0x7fffffff, v1, s8
	s_cselect_b32 vcc_lo, -1, 0
	s_cmp_lt_f32 s4, 0
	s_delay_alu instid0(VALU_DEP_1) | instskip(SKIP_2) | instid1(VALU_DEP_1)
	v_cndmask_b32_e32 v2, 0x7fc00000, v1, vcc_lo
	s_cselect_b32 vcc_lo, -1, 0
	s_cmp_eq_f32 s4, 0
	v_cndmask_b32_e32 v1, v1, v2, vcc_lo
	s_cselect_b32 s8, -1, 0
	s_delay_alu instid0(SALU_CYCLE_1) | instskip(SKIP_2) | instid1(SALU_CYCLE_1)
	s_or_b32 vcc_lo, s8, s7
	s_cmp_lt_f32 s5, 0
	s_cselect_b32 s5, -1, 0
	s_xor_b32 s5, s5, s8
	s_delay_alu instid0(SALU_CYCLE_1)
	s_and_b32 s5, s5, exec_lo
	s_cselect_b32 s5, 0, 0x7f800000
	s_and_b32 s6, s6, exec_lo
	s_cselect_b32 s6, s4, 0
	s_cmp_o_f32 s4, s4
	v_mov_b32_e32 v2, s6
	s_delay_alu instid0(VALU_DEP_1) | instskip(NEXT) | instid1(VALU_DEP_1)
	v_bfi_b32 v2, 0x7fffffff, s5, v2
	v_cndmask_b32_e32 v1, v1, v2, vcc_lo
	s_cselect_b32 vcc_lo, -1, 0
	s_delay_alu instid0(VALU_DEP_1)
	v_cndmask_b32_e32 v81, 0x7fc00000, v1, vcc_lo
.LBB22_2:
	s_load_b64 s[22:23], s[0:1], 0x4
	s_clause 0x1
	s_load_b96 s[24:26], s[2:3], 0x70
	s_load_b512 s[4:19], s[2:3], 0x0
	v_bfe_u32 v77, v0, 10, 10
	s_wait_xcnt 0x0
	s_bfe_u32 s0, ttmp6, 0x4000c
	s_and_b32 s1, ttmp6, 15
	s_add_co_i32 s0, s0, 1
	v_and_b32_e32 v21, 0x3ff, v0
	s_mul_i32 s0, ttmp9, s0
	v_bfe_u32 v1, v0, 20, 10
	s_add_co_i32 s1, s1, s0
	s_delay_alu instid0(VALU_DEP_2) | instskip(NEXT) | instid1(VALU_DEP_1)
	v_dual_mov_b32 v0, 0 :: v_dual_lshlrev_b32 v79, 2, v21
	v_and_b32_e32 v20, 28, v79
	s_wait_kmcnt 0x0
	v_mul_u32_u24_e32 v2, s23, v77
	s_lshr_b32 s0, s22, 16
	s_cmp_eq_u32 s31, 0
	s_mul_i32 s0, s0, s23
	s_cselect_b32 s22, ttmp9, s1
	v_mad_u32_u24 v2, s0, v21, v2
	s_lshl_b32 s42, s22, 1
	s_mul_i32 s0, s30, s26
	s_mul_i32 s1, s24, s42
	;; [unrolled: 1-line block ×3, first 2 shown]
	v_add_lshl_u32 v9, v2, v1, 6
	s_add_co_i32 s0, s0, s1
	s_delay_alu instid0(SALU_CYCLE_1) | instskip(NEXT) | instid1(SALU_CYCLE_1)
	s_add_co_i32 s0, s0, s23
	s_ashr_i32 s1, s0, 31
	s_delay_alu instid0(VALU_DEP_1)
	v_add_nc_u32_e32 v1, 0x1204, v9
	v_add_nc_u32_e32 v2, 0x120c, v9
	s_cmp_lt_i32 s42, s28
	v_add_nc_u32_e32 v3, 0x1214, v9
	v_add_nc_u32_e32 v4, 0x121c, v9
	s_cselect_b32 s46, -1, 0
	s_cmp_ge_i32 s42, s28
	v_add_nc_u32_e32 v5, 0x1224, v9
	v_add_nc_u32_e32 v8, 0x1000, v9
	ds_store_2addr_b32 v1, v0, v0 offset1:1
	ds_store_2addr_b32 v2, v0, v0 offset1:1
	ds_store_2addr_b32 v3, v0, v0 offset1:1
	ds_store_2addr_b32 v4, v0, v0 offset1:1
	v_lshlrev_b32_e32 v2, 3, v20
	v_add_nc_u32_e32 v6, 0x122c, v9
	s_cselect_b32 s43, -1, 0
	v_add_nc_u32_e32 v7, 0x1234, v9
	s_add_nc_u64 s[0:1], s[4:5], s[0:1]
	s_and_b32 vcc_lo, exec_lo, s43
	ds_store_2addr_b32 v5, v0, v0 offset1:1
	ds_store_2addr_b32 v6, v0, v0 offset1:1
	;; [unrolled: 1-line block ×3, first 2 shown]
	ds_store_2addr_b32 v8, v0, v0 offset0:128 offset1:143
	s_cbranch_vccnz .LBB22_5
; %bb.3:
	s_clause 0x1
	global_load_b128 v[4:7], v2, s[0:1]
	global_load_b128 v[10:13], v2, s[0:1] offset:16
	s_wait_loadcnt 0x1
	v_cvt_pk_f16_f32 v0, v4, v5
	v_cvt_pk_f16_f32 v7, v6, v7
	s_wait_loadcnt 0x0
	v_cvt_pk_f16_f32 v8, v10, v11
	v_cvt_pk_f16_f32 v3, v12, v13
	s_and_not1_b32 vcc_lo, exec_lo, s46
	s_cbranch_vccz .LBB22_6
.LBB22_4:
	v_dual_mov_b32 v4, 0 :: v_dual_mov_b32 v5, 0
	v_dual_mov_b32 v6, 0 :: v_dual_mov_b32 v1, 0
	s_branch .LBB22_7
.LBB22_5:
	v_dual_mov_b32 v7, 0 :: v_dual_mov_b32 v8, 0
	v_mov_b32_e32 v3, 0
	s_and_not1_b32 vcc_lo, exec_lo, s46
	s_cbranch_vccnz .LBB22_4
.LBB22_6:
	s_clause 0x1
	global_load_b128 v[10:13], v2, s[0:1] offset:256
	global_load_b128 v[14:17], v2, s[0:1] offset:272
	s_wait_loadcnt 0x1
	v_cvt_pk_f16_f32 v4, v10, v11
	v_cvt_pk_f16_f32 v5, v12, v13
	s_wait_loadcnt 0x0
	v_cvt_pk_f16_f32 v6, v14, v15
	v_cvt_pk_f16_f32 v1, v16, v17
.LBB22_7:
	s_or_b32 s4, s42, 1
	s_ashr_i32 s25, s24, 31
	s_cmp_lt_i32 s4, s28
	s_add_nc_u64 s[0:1], s[0:1], s[24:25]
	s_cselect_b32 s47, -1, 0
	s_cmp_ge_i32 s4, s28
	s_cbranch_scc1 .LBB22_10
; %bb.8:
	s_clause 0x1
	global_load_b128 v[12:15], v2, s[0:1]
	global_load_b128 v[16:19], v2, s[0:1] offset:16
	s_wait_loadcnt 0x1
	v_cvt_pk_f16_f32 v12, v12, v13
	v_cvt_pk_f16_f32 v13, v14, v15
	s_wait_loadcnt 0x0
	v_cvt_pk_f16_f32 v14, v16, v17
	v_cvt_pk_f16_f32 v15, v18, v19
	v_cndmask_b32_e64 v78, 0, 1, s47
	s_and_not1_b32 vcc_lo, exec_lo, s47
	s_cbranch_vccz .LBB22_11
.LBB22_9:
	v_dual_mov_b32 v16, 0 :: v_dual_mov_b32 v17, 0
	v_dual_mov_b32 v11, 0 :: v_dual_mov_b32 v10, 0
	s_cmp_eq_u64 s[14:15], 0
	s_mov_b32 s44, s40
	s_cbranch_scc0 .LBB22_12
	s_branch .LBB22_13
.LBB22_10:
	v_dual_mov_b32 v12, 0 :: v_dual_mov_b32 v13, 0
	v_dual_mov_b32 v14, 0 :: v_dual_mov_b32 v15, 0
	v_cndmask_b32_e64 v78, 0, 1, s47
	s_and_not1_b32 vcc_lo, exec_lo, s47
	s_cbranch_vccnz .LBB22_9
.LBB22_11:
	s_clause 0x1
	global_load_b128 v[16:19], v2, s[0:1] offset:256
	global_load_b128 v[22:25], v2, s[0:1] offset:272
	s_wait_loadcnt 0x1
	v_cvt_pk_f16_f32 v16, v16, v17
	v_cvt_pk_f16_f32 v17, v18, v19
	s_wait_loadcnt 0x0
	v_cvt_pk_f16_f32 v11, v22, v23
	v_cvt_pk_f16_f32 v10, v24, v25
	s_cmp_eq_u64 s[14:15], 0
	s_mov_b32 s44, s40
	s_cbranch_scc1 .LBB22_13
.LBB22_12:
	s_load_b32 s0, s[2:3], 0xd0
	s_wait_kmcnt 0x0
	s_mul_i32 s0, s0, s30
	s_delay_alu instid0(SALU_CYCLE_1)
	s_add_co_i32 s0, s0, s22
	s_load_b32 s44, s[14:15], s0 offset:0x0 scale_offset
.LBB22_13:
	v_lshlrev_b32_e32 v2, 5, v77
	s_wait_xcnt 0x0
	s_bfe_u32 s0, ttmp6, 0x40010
	s_and_b32 s1, ttmp7, 0xffff
	s_add_co_i32 s0, s0, 1
	s_bfe_u32 s4, ttmp6, 0x40004
	s_mul_i32 s0, s1, s0
	v_add_nc_u32_e32 v74, v2, v21
	s_add_co_i32 s4, s4, s0
	s_cmp_eq_u32 s31, 0
	v_add_nc_u32_e32 v76, 0x1200, v9
	s_cselect_b32 s26, s1, s4
	v_lshlrev_b32_e32 v75, 1, v74
	v_mbcnt_lo_u32_b32 v80, -1, 0
	s_lshl_b32 s45, s26, 7
	s_mov_b32 s25, 0
	s_wait_kmcnt 0x0
	s_cmp_ge_i32 s45, s44
	s_add_nc_u64 s[14:15], s[2:3], 0xd0
	s_cbranch_scc1 .LBB22_113
; %bb.14:
	s_mul_f32 s0, s35, 0x4f7ffffe
	s_mul_f32 s1, s21, 0x4f7ffffe
	s_sub_co_i32 s4, 0, s41
	s_sub_co_i32 s5, 0, s36
	s_cvt_u32_f32 s21, s0
	s_cvt_u32_f32 s1, s1
	s_cvt_f16_f32 s20, s20
	s_abs_i32 s38, s33
	s_mul_i32 s4, s4, s21
	s_mul_i32 s5, s5, s1
	s_mul_hi_u32 s4, s21, s4
	s_mul_hi_u32 s5, s1, s5
	s_add_co_i32 s4, s21, s4
	s_add_co_i32 s22, s1, s5
	s_mov_b32 s5, s39
	s_abs_i32 s0, s30
	s_mov_b32 s1, s39
	s_mov_b32 s23, s39
	s_mul_u64 s[4:5], s[38:39], s[4:5]
	s_ashr_i32 s50, s34, 31
	s_and_b32 s4, 0xffff, s20
	s_mul_u64 s[48:49], s[0:1], s[22:23]
	s_clause 0x1
	s_load_b64 s[34:35], s[2:3], 0x8c
	s_load_b128 s[20:23], s[2:3], 0x98
	s_mul_i32 s52, s4, 0x10001
	s_mul_i32 s1, s5, s41
	v_pk_mul_f16 v113, v0, s52
	v_and_b32_e32 v0, 0x78, v21
	s_ashr_i32 s24, s33, 31
	s_sub_co_i32 s1, s38, s1
	s_ashr_i32 s31, s30, 31
	s_xor_b32 s4, s24, s50
	v_add_nc_u32_e32 v24, v2, v0
	s_add_co_i32 s24, s5, 1
	s_sub_co_i32 s38, s1, s41
	s_cmp_ge_u32 s1, s41
	v_pk_mul_f16 v120, v1, s52
	s_cselect_b32 s5, s24, s5
	s_cselect_b32 s1, s38, s1
	s_add_co_i32 s24, s5, 1
	s_cmp_ge_u32 s1, s41
	s_clause 0x1
	s_load_b64 s[38:39], s[2:3], 0xa8
	s_load_b64 s[50:51], s[2:3], 0xc8
	s_wait_kmcnt 0x0
	v_mul_lo_u32 v26, v24, s34
	s_cselect_b32 s1, s24, s5
	s_mul_i32 s24, s49, s36
	s_xor_b32 s1, s1, s4
	s_sub_co_i32 s0, s0, s24
	s_sub_co_i32 s1, s1, s4
	v_dual_mov_b32 v31, 0 :: v_dual_lshlrev_b32 v0, 3, v21
	s_mul_i32 s4, s1, s35
	s_mul_i32 s48, s1, s23
	s_ashr_i32 s5, s4, 31
	s_delay_alu instid0(VALU_DEP_2) | instskip(SKIP_3) | instid1(VALU_DEP_1)
	v_add_nc_u32_e32 v28, s34, v26
	s_ashr_i32 s49, s48, 31
	s_sub_co_i32 s1, s0, s36
	s_cmp_ge_u32 s0, s36
	v_dual_add_nc_u32 v32, s34, v28 :: v_dual_bitop2_b32 v1, 7, v21 bitop3:0x40
	s_cselect_b32 s0, s1, s0
	v_dual_mov_b32 v25, v31 :: v_dual_add_nc_u32 v36, s40, v24
	s_sub_co_i32 s1, s0, s36
	s_cmp_ge_u32 s0, s36
	v_dual_add_nc_u32 v34, s34, v32 :: v_dual_ashrrev_i32 v27, 31, v26
	s_cselect_b32 s0, s1, s0
	v_pk_mul_f16 v116, v3, s52
	s_xor_b32 s23, s0, s31
	s_delay_alu instid0(VALU_DEP_2)
	v_dual_add_nc_u32 v38, s34, v34 :: v_dual_ashrrev_i32 v37, 31, v36
	s_mul_u64 s[0:1], s[20:21], s[30:31]
	s_sub_co_i32 s20, s23, s31
	s_add_nc_u64 s[0:1], s[6:7], s[0:1]
	s_ashr_i32 s21, s20, 31
	s_mul_i32 s36, s37, s42
	s_mul_u64 s[6:7], s[50:51], s[20:21]
	v_dual_lshrrev_b32 v3, 3, v21 :: v_dual_bitop2_b32 v0, 56, v0 bitop3:0x40
	v_dual_ashrrev_i32 v29, 31, v28 :: v_dual_add_nc_u32 v40, s34, v38
	s_mul_u64 s[20:21], s[38:39], s[30:31]
	s_add_nc_u64 s[6:7], s[10:11], s[6:7]
	s_ashr_i32 s37, s36, 31
	s_add_nc_u64 s[8:9], s[8:9], s[20:21]
	s_add_nc_u64 s[6:7], s[6:7], s[36:37]
	s_lshl_b32 s24, s45, 1
	v_pk_mul_f16 v117, v4, s52
	v_dual_ashrrev_i32 v39, 31, v38 :: v_dual_add_nc_u32 v42, s34, v40
	v_dual_ashrrev_i32 v41, 31, v40 :: v_dual_add_nc_u32 v4, v2, v3
	s_add_nc_u64 s[8:9], s[8:9], s[48:49]
	s_add_nc_u64 s[20:21], s[6:7], s[24:25]
	s_mul_i32 s24, s22, s45
	s_add_nc_u64 s[0:1], s[0:1], s[4:5]
	s_add_nc_u64 s[36:37], s[8:9], s[24:25]
	s_mul_i32 s24, s34, s45
	v_pk_mul_f16 v118, v5, s52
	s_add_nc_u64 s[38:39], s[0:1], s[24:25]
	v_cmp_eq_u32_e64 s0, 0, v1
	v_cmp_eq_u32_e64 s1, 1, v1
	;; [unrolled: 1-line block ×6, first 2 shown]
	v_dual_ashrrev_i32 v43, 31, v42 :: v_dual_bitop2_b32 v2, v2, v3 bitop3:0x54
	v_cmp_eq_u32_e64 s8, 6, v1
	v_dual_add_nc_u32 v44, s34, v42 :: v_dual_add_nc_u32 v3, 4, v4
	v_add_nc_u32_e32 v5, 8, v4
	v_cmp_eq_u32_e64 s9, 7, v1
	v_add_nc_u32_e32 v1, 12, v4
	v_pk_mul_f16 v119, v6, s52
	v_mul_lo_u32 v48, v3, s22
	v_mul_lo_u32 v50, v5, s22
	v_dual_add_nc_u32 v5, 20, v4 :: v_dual_bitop2_b32 v3, 16, v2 bitop3:0x54
	v_mul_lo_u32 v52, v1, s22
	v_dual_add_nc_u32 v1, 24, v4 :: v_dual_add_nc_u32 v6, 28, v4
	v_mul_lo_u32 v46, v2, s22
	s_delay_alu instid0(VALU_DEP_4) | instskip(SKIP_1) | instid1(VALU_DEP_4)
	v_mul_lo_u32 v54, v3, s22
	v_mul_lo_u32 v56, v5, s22
	;; [unrolled: 1-line block ×4, first 2 shown]
	s_cmp_lg_u64 s[10:11], 0
	v_dual_lshlrev_b32 v30, 1, v0 :: v_dual_lshlrev_b32 v82, 1, v2
	v_dual_mov_b32 v3, v31 :: v_dual_bitop2_b32 v0, 24, v80 bitop3:0x40
	s_cselect_b32 s24, -1, 0
	s_ashr_i32 s41, s40, 31
	v_pk_mul_f16 v105, v12, s52
	v_add_nc_u64_e32 v[64:65], s[40:41], v[24:25]
	v_pk_mul_f16 v106, v13, s52
	v_pk_mul_f16 v107, v14, s52
	;; [unrolled: 1-line block ×9, first 2 shown]
	v_dual_ashrrev_i32 v33, 31, v32 :: v_dual_ashrrev_i32 v35, 31, v34
	v_dual_ashrrev_i32 v45, 31, v44 :: v_dual_ashrrev_i32 v47, 31, v46
	v_dual_lshlrev_b32 v83, 1, v4 :: v_dual_ashrrev_i32 v51, 31, v50
	v_dual_ashrrev_i32 v49, 31, v48 :: v_dual_ashrrev_i32 v55, 31, v54
	v_dual_ashrrev_i32 v53, 31, v52 :: v_dual_ashrrev_i32 v59, 31, v58
	v_dual_ashrrev_i32 v57, 31, v56 :: v_dual_mov_b32 v63, v31
	v_dual_mov_b32 v2, v31 :: v_dual_ashrrev_i32 v61, 31, v60
	v_dual_mov_b32 v1, v31 :: v_dual_lshlrev_b32 v62, 2, v20
	v_dual_add_nc_u32 v84, 8, v0 :: v_dual_mov_b32 v0, v31
	v_dual_mov_b32 v7, v31 :: v_dual_mov_b32 v6, v31
	v_dual_mov_b32 v5, v31 :: v_dual_mov_b32 v4, v31
	;; [unrolled: 1-line block ×8, first 2 shown]
	v_xor_b32_e32 v85, 4, v80
	v_xor_b32_e32 v86, 2, v80
	;; [unrolled: 1-line block ×3, first 2 shown]
	v_mov_b32_e32 v87, 0xfeffffff
	s_add_nc_u64 s[10:11], s[2:3], 0xd0
	s_and_b32 s23, s24, s46
	s_and_b32 s31, s24, s47
	s_mov_b32 s35, 0xbbbac73d
.LBB22_15:                              ; =>This Inner Loop Header: Depth=1
	v_add_nc_u64_e32 v[68:69], s[38:39], v[62:63]
	v_cmp_lt_i32_e32 vcc_lo, v85, v84
	v_dual_mov_b32 v92, 0 :: v_dual_cndmask_b32 v72, v80, v85, vcc_lo
	s_delay_alu instid0(VALU_DEP_3) | instskip(SKIP_1) | instid1(VALU_DEP_3)
	v_add_nc_u64_e32 v[70:71], v[68:69], v[26:27]
	v_cmp_lt_i32_e32 vcc_lo, v86, v84
	v_dual_lshlrev_b32 v93, 2, v72 :: v_dual_cndmask_b32 v73, v80, v86, vcc_lo
	global_load_b128 v[16:19], v[70:71], off
	s_wait_loadcnt 0x0
	;;#ASMSTART
	v_dot2_f32_f16 v92, v16, v113, v92
	;;#ASMEND
	;;#ASMSTART
	v_dot2_f32_f16 v92, v17, v114, v92
	;;#ASMEND
	;;#ASMSTART
	v_dot2_f32_f16 v92, v18, v115, v92
	;;#ASMEND
	;;#ASMSTART
	v_dot2_f32_f16 v92, v19, v116, v92
	;;#ASMEND
	global_load_b128 v[88:91], v[70:71], off offset:128
	s_wait_loadcnt 0x0
	;;#ASMSTART
	v_dot2_f32_f16 v92, v88, v117, v92
	;;#ASMEND
	;;#ASMSTART
	v_dot2_f32_f16 v92, v89, v118, v92
	;;#ASMEND
	;; [unrolled: 3-line block ×4, first 2 shown]
	ds_bpermute_b32 v72, v93, v92
	v_lshlrev_b32_e32 v94, 2, v73
	v_cmp_lt_i32_e32 vcc_lo, v25, v84
	v_cndmask_b32_e32 v88, v80, v25, vcc_lo
	s_delay_alu instid0(VALU_DEP_1)
	v_lshlrev_b32_e32 v95, 2, v88
	s_wait_dscnt 0x0
	v_add_f32_e32 v72, v92, v72
	ds_bpermute_b32 v73, v94, v72
	s_wait_dscnt 0x0
	v_add_f32_e32 v72, v72, v73
	ds_bpermute_b32 v73, v95, v72
	s_wait_dscnt 0x0
	v_add_f32_e32 v72, v72, v73
                                        ; implicit-def: $vgpr73
	s_delay_alu instid0(VALU_DEP_1) | instskip(SKIP_1) | instid1(SALU_CYCLE_1)
	v_cmp_ngt_f32_e64 s24, 0x3f200000, |v72|
	s_and_saveexec_b32 s40, s24
	s_xor_b32 s24, exec_lo, s40
	s_cbranch_execz .LBB22_17
; %bb.16:                               ;   in Loop: Header=BB22_15 Depth=1
	v_add_f32_e64 v73, |v72|, |v72|
	s_delay_alu instid0(VALU_DEP_1) | instskip(SKIP_1) | instid1(VALU_DEP_2)
	v_mul_f32_e32 v88, 0x3fb8aa3b, v73
	v_cmp_ngt_f32_e32 vcc_lo, 0xc2ce8ed0, v73
	v_rndne_f32_e32 v89, v88
	v_fma_f32 v90, 0x3fb8aa3b, v73, -v88
	s_delay_alu instid0(VALU_DEP_2) | instskip(NEXT) | instid1(VALU_DEP_2)
	v_sub_f32_e32 v88, v88, v89
	v_fmac_f32_e32 v90, 0x32a5705f, v73
	v_cvt_i32_f32_e32 v89, v89
	s_delay_alu instid0(VALU_DEP_2) | instskip(NEXT) | instid1(VALU_DEP_1)
	v_add_f32_e32 v88, v88, v90
	v_exp_f32_e32 v88, v88
	v_nop
	s_delay_alu instid0(TRANS32_DEP_1) | instskip(NEXT) | instid1(VALU_DEP_1)
	v_ldexp_f32 v88, v88, v89
	v_cndmask_b32_e32 v88, 0, v88, vcc_lo
	v_cmp_nlt_f32_e32 vcc_lo, 0x42b17218, v73
	s_delay_alu instid0(VALU_DEP_2) | instskip(NEXT) | instid1(VALU_DEP_1)
	v_cndmask_b32_e32 v73, 0x7f800000, v88, vcc_lo
	v_add_f32_e32 v73, 1.0, v73
	s_delay_alu instid0(VALU_DEP_1) | instskip(SKIP_1) | instid1(TRANS32_DEP_1)
	v_rcp_f32_e32 v73, v73
	v_nop
	v_fma_f32 v73, v73, -2.0, 1.0
.LBB22_17:                              ;   in Loop: Header=BB22_15 Depth=1
	s_and_not1_saveexec_b32 s24, s24
	s_cbranch_execz .LBB22_19
; %bb.18:                               ;   in Loop: Header=BB22_15 Depth=1
	v_mul_f32_e32 v73, v72, v72
	s_delay_alu instid0(VALU_DEP_1) | instskip(NEXT) | instid1(VALU_DEP_1)
	v_fmaak_f32 v88, s35, v73, 0x3ca908c9
	v_fmaak_f32 v88, v73, v88, 0xbd5c1c4e
	s_delay_alu instid0(VALU_DEP_1) | instskip(NEXT) | instid1(VALU_DEP_1)
	v_fmaak_f32 v88, v73, v88, 0x3e088382
	v_fmaak_f32 v88, v73, v88, 0xbeaaaa99
	s_delay_alu instid0(VALU_DEP_1) | instskip(NEXT) | instid1(VALU_DEP_1)
	v_mul_f32_e64 v88, |v72|, v88
	v_fma_f32 v73, v73, v88, |v72|
.LBB22_19:                              ;   in Loop: Header=BB22_15 Depth=1
	s_or_b32 exec_lo, exec_lo, s24
	s_delay_alu instid0(VALU_DEP_1) | instskip(SKIP_1) | instid1(VALU_DEP_1)
	v_bfi_b32 v72, 0x7fffffff, v73, v72
	s_and_not1_b32 vcc_lo, exec_lo, s23
	v_mul_f32_e32 v88, s27, v72
	s_cbranch_vccnz .LBB22_21
; %bb.20:                               ;   in Loop: Header=BB22_15 Depth=1
	global_load_u16 v72, v24, s[20:21] scale_offset
	s_wait_loadcnt 0x0
	v_fma_mix_f32 v88, v81, v72, v88 op_sel_hi:[0,1,0]
.LBB22_21:                              ;   in Loop: Header=BB22_15 Depth=1
	v_mov_b32_e32 v72, 0
	;;#ASMSTART
	v_dot2_f32_f16 v72, v16, v105, v72
	;;#ASMEND
	;;#ASMSTART
	v_dot2_f32_f16 v72, v17, v106, v72
	;;#ASMEND
	;; [unrolled: 3-line block ×4, first 2 shown]
	global_load_b128 v[16:19], v[70:71], off offset:128
	s_wait_loadcnt 0x0
	;;#ASMSTART
	v_dot2_f32_f16 v72, v16, v109, v72
	;;#ASMEND
	;;#ASMSTART
	v_dot2_f32_f16 v72, v17, v110, v72
	;;#ASMEND
	;;#ASMSTART
	v_dot2_f32_f16 v72, v18, v111, v72
	;;#ASMEND
	;;#ASMSTART
	v_dot2_f32_f16 v72, v19, v112, v72
	;;#ASMEND
	ds_bpermute_b32 v16, v93, v72
	s_wait_dscnt 0x0
	v_add_f32_e32 v16, v72, v16
	ds_bpermute_b32 v17, v94, v16
	s_wait_dscnt 0x0
	v_add_f32_e32 v16, v16, v17
	;; [unrolled: 3-line block ×3, first 2 shown]
                                        ; implicit-def: $vgpr17
	s_delay_alu instid0(VALU_DEP_1) | instskip(SKIP_1) | instid1(SALU_CYCLE_1)
	v_cmp_ngt_f32_e64 s24, 0x3f200000, |v16|
	s_and_saveexec_b32 s40, s24
	s_xor_b32 s24, exec_lo, s40
	s_cbranch_execz .LBB22_23
; %bb.22:                               ;   in Loop: Header=BB22_15 Depth=1
	v_add_f32_e64 v17, |v16|, |v16|
	s_delay_alu instid0(VALU_DEP_1) | instskip(SKIP_1) | instid1(VALU_DEP_2)
	v_mul_f32_e32 v18, 0x3fb8aa3b, v17
	v_cmp_ngt_f32_e32 vcc_lo, 0xc2ce8ed0, v17
	v_rndne_f32_e32 v19, v18
	v_fma_f32 v70, 0x3fb8aa3b, v17, -v18
	s_delay_alu instid0(VALU_DEP_2) | instskip(NEXT) | instid1(VALU_DEP_2)
	v_sub_f32_e32 v18, v18, v19
	v_fmac_f32_e32 v70, 0x32a5705f, v17
	v_cvt_i32_f32_e32 v19, v19
	s_delay_alu instid0(VALU_DEP_2) | instskip(NEXT) | instid1(VALU_DEP_1)
	v_add_f32_e32 v18, v18, v70
	v_exp_f32_e32 v18, v18
	v_nop
	s_delay_alu instid0(TRANS32_DEP_1) | instskip(NEXT) | instid1(VALU_DEP_1)
	v_ldexp_f32 v18, v18, v19
	v_cndmask_b32_e32 v18, 0, v18, vcc_lo
	v_cmp_nlt_f32_e32 vcc_lo, 0x42b17218, v17
	s_delay_alu instid0(VALU_DEP_2) | instskip(NEXT) | instid1(VALU_DEP_1)
	v_cndmask_b32_e32 v17, 0x7f800000, v18, vcc_lo
	v_add_f32_e32 v17, 1.0, v17
	s_delay_alu instid0(VALU_DEP_1) | instskip(SKIP_1) | instid1(TRANS32_DEP_1)
	v_rcp_f32_e32 v17, v17
	v_nop
	v_fma_f32 v17, v17, -2.0, 1.0
.LBB22_23:                              ;   in Loop: Header=BB22_15 Depth=1
	s_and_not1_saveexec_b32 s24, s24
	s_cbranch_execz .LBB22_25
; %bb.24:                               ;   in Loop: Header=BB22_15 Depth=1
	v_mul_f32_e32 v17, v16, v16
	s_delay_alu instid0(VALU_DEP_1) | instskip(NEXT) | instid1(VALU_DEP_1)
	v_fmaak_f32 v18, s35, v17, 0x3ca908c9
	v_fmaak_f32 v18, v17, v18, 0xbd5c1c4e
	s_delay_alu instid0(VALU_DEP_1) | instskip(NEXT) | instid1(VALU_DEP_1)
	v_fmaak_f32 v18, v17, v18, 0x3e088382
	v_fmaak_f32 v18, v17, v18, 0xbeaaaa99
	s_delay_alu instid0(VALU_DEP_1) | instskip(NEXT) | instid1(VALU_DEP_1)
	v_mul_f32_e64 v18, |v16|, v18
	v_fma_f32 v17, v17, v18, |v16|
.LBB22_25:                              ;   in Loop: Header=BB22_15 Depth=1
	s_or_b32 exec_lo, exec_lo, s24
	s_delay_alu instid0(VALU_DEP_1) | instskip(SKIP_1) | instid1(VALU_DEP_1)
	v_bfi_b32 v16, 0x7fffffff, v17, v16
	s_and_not1_b32 vcc_lo, exec_lo, s31
	v_mul_f32_e32 v89, s27, v16
	s_cbranch_vccnz .LBB22_27
; %bb.26:                               ;   in Loop: Header=BB22_15 Depth=1
	v_lshl_add_u64 v[16:17], v[36:37], 1, s[20:21]
	global_load_u16 v16, v[16:17], off
	s_wait_loadcnt 0x0
	v_fma_mix_f32 v89, v81, v16, v89 op_sel_hi:[0,1,0]
.LBB22_27:                              ;   in Loop: Header=BB22_15 Depth=1
	v_add_nc_u64_e32 v[70:71], v[68:69], v[28:29]
	v_mov_b32_e32 v73, 0
	global_load_b128 v[16:19], v[70:71], off
	s_wait_loadcnt 0x0
	;;#ASMSTART
	v_dot2_f32_f16 v73, v16, v113, v73
	;;#ASMEND
	;;#ASMSTART
	v_dot2_f32_f16 v73, v17, v114, v73
	;;#ASMEND
	;; [unrolled: 3-line block ×4, first 2 shown]
	global_load_b128 v[96:99], v[70:71], off offset:128
	s_wait_loadcnt 0x0
	;;#ASMSTART
	v_dot2_f32_f16 v73, v96, v117, v73
	;;#ASMEND
	;;#ASMSTART
	v_dot2_f32_f16 v73, v97, v118, v73
	;;#ASMEND
	;; [unrolled: 3-line block ×4, first 2 shown]
	ds_bpermute_b32 v72, v93, v73
	s_wait_dscnt 0x0
	v_add_f32_e32 v72, v73, v72
	ds_bpermute_b32 v73, v94, v72
	s_wait_dscnt 0x0
	v_add_f32_e32 v72, v72, v73
	;; [unrolled: 3-line block ×3, first 2 shown]
                                        ; implicit-def: $vgpr73
	s_delay_alu instid0(VALU_DEP_1) | instskip(SKIP_1) | instid1(SALU_CYCLE_1)
	v_cmp_ngt_f32_e64 s24, 0x3f200000, |v72|
	s_and_saveexec_b32 s40, s24
	s_xor_b32 s24, exec_lo, s40
	s_cbranch_execz .LBB22_29
; %bb.28:                               ;   in Loop: Header=BB22_15 Depth=1
	v_add_f32_e64 v73, |v72|, |v72|
	s_delay_alu instid0(VALU_DEP_1) | instskip(SKIP_1) | instid1(VALU_DEP_2)
	v_mul_f32_e32 v90, 0x3fb8aa3b, v73
	v_cmp_ngt_f32_e32 vcc_lo, 0xc2ce8ed0, v73
	v_rndne_f32_e32 v91, v90
	v_fma_f32 v92, 0x3fb8aa3b, v73, -v90
	s_delay_alu instid0(VALU_DEP_2) | instskip(NEXT) | instid1(VALU_DEP_2)
	v_sub_f32_e32 v90, v90, v91
	v_fmac_f32_e32 v92, 0x32a5705f, v73
	v_cvt_i32_f32_e32 v91, v91
	s_delay_alu instid0(VALU_DEP_2) | instskip(NEXT) | instid1(VALU_DEP_1)
	v_add_f32_e32 v90, v90, v92
	v_exp_f32_e32 v90, v90
	v_nop
	s_delay_alu instid0(TRANS32_DEP_1) | instskip(NEXT) | instid1(VALU_DEP_1)
	v_ldexp_f32 v90, v90, v91
	v_cndmask_b32_e32 v90, 0, v90, vcc_lo
	v_cmp_nlt_f32_e32 vcc_lo, 0x42b17218, v73
	s_delay_alu instid0(VALU_DEP_2) | instskip(NEXT) | instid1(VALU_DEP_1)
	v_cndmask_b32_e32 v73, 0x7f800000, v90, vcc_lo
	v_add_f32_e32 v73, 1.0, v73
	s_delay_alu instid0(VALU_DEP_1) | instskip(SKIP_1) | instid1(TRANS32_DEP_1)
	v_rcp_f32_e32 v73, v73
	v_nop
	v_fma_f32 v73, v73, -2.0, 1.0
.LBB22_29:                              ;   in Loop: Header=BB22_15 Depth=1
	s_and_not1_saveexec_b32 s24, s24
	s_cbranch_execz .LBB22_31
; %bb.30:                               ;   in Loop: Header=BB22_15 Depth=1
	v_mul_f32_e32 v73, v72, v72
	s_delay_alu instid0(VALU_DEP_1) | instskip(NEXT) | instid1(VALU_DEP_1)
	v_fmaak_f32 v90, s35, v73, 0x3ca908c9
	v_fmaak_f32 v90, v73, v90, 0xbd5c1c4e
	s_delay_alu instid0(VALU_DEP_1) | instskip(NEXT) | instid1(VALU_DEP_1)
	v_fmaak_f32 v90, v73, v90, 0x3e088382
	v_fmaak_f32 v90, v73, v90, 0xbeaaaa99
	s_delay_alu instid0(VALU_DEP_1) | instskip(NEXT) | instid1(VALU_DEP_1)
	v_mul_f32_e64 v90, |v72|, v90
	v_fma_f32 v73, v73, v90, |v72|
.LBB22_31:                              ;   in Loop: Header=BB22_15 Depth=1
	s_or_b32 exec_lo, exec_lo, s24
	s_delay_alu instid0(VALU_DEP_1) | instskip(SKIP_1) | instid1(VALU_DEP_1)
	v_bfi_b32 v72, 0x7fffffff, v73, v72
	s_and_not1_b32 vcc_lo, exec_lo, s23
	v_mul_f32_e32 v90, s27, v72
	s_cbranch_vccnz .LBB22_33
; %bb.32:                               ;   in Loop: Header=BB22_15 Depth=1
	global_load_u16 v72, v24, s[20:21] offset:2 scale_offset
	s_wait_loadcnt 0x0
	v_fma_mix_f32 v90, v81, v72, v90 op_sel_hi:[0,1,0]
.LBB22_33:                              ;   in Loop: Header=BB22_15 Depth=1
	v_mov_b32_e32 v72, 0
	;;#ASMSTART
	v_dot2_f32_f16 v72, v16, v105, v72
	;;#ASMEND
	;;#ASMSTART
	v_dot2_f32_f16 v72, v17, v106, v72
	;;#ASMEND
	;; [unrolled: 3-line block ×4, first 2 shown]
	global_load_b128 v[16:19], v[70:71], off offset:128
	s_wait_loadcnt 0x0
	;;#ASMSTART
	v_dot2_f32_f16 v72, v16, v109, v72
	;;#ASMEND
	;;#ASMSTART
	v_dot2_f32_f16 v72, v17, v110, v72
	;;#ASMEND
	;; [unrolled: 3-line block ×4, first 2 shown]
	ds_bpermute_b32 v16, v93, v72
	s_wait_dscnt 0x0
	v_add_f32_e32 v16, v72, v16
	ds_bpermute_b32 v17, v94, v16
	s_wait_dscnt 0x0
	v_add_f32_e32 v16, v16, v17
	;; [unrolled: 3-line block ×3, first 2 shown]
                                        ; implicit-def: $vgpr17
	s_delay_alu instid0(VALU_DEP_1) | instskip(SKIP_1) | instid1(SALU_CYCLE_1)
	v_cmp_ngt_f32_e64 s24, 0x3f200000, |v16|
	s_and_saveexec_b32 s40, s24
	s_xor_b32 s24, exec_lo, s40
	s_cbranch_execz .LBB22_35
; %bb.34:                               ;   in Loop: Header=BB22_15 Depth=1
	v_add_f32_e64 v17, |v16|, |v16|
	s_delay_alu instid0(VALU_DEP_1) | instskip(SKIP_1) | instid1(VALU_DEP_2)
	v_mul_f32_e32 v18, 0x3fb8aa3b, v17
	v_cmp_ngt_f32_e32 vcc_lo, 0xc2ce8ed0, v17
	v_rndne_f32_e32 v19, v18
	v_fma_f32 v70, 0x3fb8aa3b, v17, -v18
	s_delay_alu instid0(VALU_DEP_2) | instskip(NEXT) | instid1(VALU_DEP_2)
	v_sub_f32_e32 v18, v18, v19
	v_fmac_f32_e32 v70, 0x32a5705f, v17
	v_cvt_i32_f32_e32 v19, v19
	s_delay_alu instid0(VALU_DEP_2) | instskip(NEXT) | instid1(VALU_DEP_1)
	v_add_f32_e32 v18, v18, v70
	v_exp_f32_e32 v18, v18
	v_nop
	s_delay_alu instid0(TRANS32_DEP_1) | instskip(NEXT) | instid1(VALU_DEP_1)
	v_ldexp_f32 v18, v18, v19
	v_cndmask_b32_e32 v18, 0, v18, vcc_lo
	v_cmp_nlt_f32_e32 vcc_lo, 0x42b17218, v17
	s_delay_alu instid0(VALU_DEP_2) | instskip(NEXT) | instid1(VALU_DEP_1)
	v_cndmask_b32_e32 v17, 0x7f800000, v18, vcc_lo
	v_add_f32_e32 v17, 1.0, v17
	s_delay_alu instid0(VALU_DEP_1) | instskip(SKIP_1) | instid1(TRANS32_DEP_1)
	v_rcp_f32_e32 v17, v17
	v_nop
	v_fma_f32 v17, v17, -2.0, 1.0
.LBB22_35:                              ;   in Loop: Header=BB22_15 Depth=1
	s_and_not1_saveexec_b32 s24, s24
	s_cbranch_execz .LBB22_37
; %bb.36:                               ;   in Loop: Header=BB22_15 Depth=1
	v_mul_f32_e32 v17, v16, v16
	s_delay_alu instid0(VALU_DEP_1) | instskip(NEXT) | instid1(VALU_DEP_1)
	v_fmaak_f32 v18, s35, v17, 0x3ca908c9
	v_fmaak_f32 v18, v17, v18, 0xbd5c1c4e
	s_delay_alu instid0(VALU_DEP_1) | instskip(NEXT) | instid1(VALU_DEP_1)
	v_fmaak_f32 v18, v17, v18, 0x3e088382
	v_fmaak_f32 v18, v17, v18, 0xbeaaaa99
	s_delay_alu instid0(VALU_DEP_1) | instskip(NEXT) | instid1(VALU_DEP_1)
	v_mul_f32_e64 v18, |v16|, v18
	v_fma_f32 v17, v17, v18, |v16|
.LBB22_37:                              ;   in Loop: Header=BB22_15 Depth=1
	s_or_b32 exec_lo, exec_lo, s24
	s_delay_alu instid0(VALU_DEP_1) | instskip(SKIP_2) | instid1(VALU_DEP_2)
	v_bfi_b32 v16, 0x7fffffff, v17, v16
	v_lshl_add_u64 v[70:71], v[64:65], 1, s[20:21]
	s_and_not1_b32 vcc_lo, exec_lo, s31
	v_mul_f32_e32 v91, s27, v16
	s_cbranch_vccnz .LBB22_39
; %bb.38:                               ;   in Loop: Header=BB22_15 Depth=1
	global_load_u16 v16, v[70:71], off offset:2
	s_wait_loadcnt 0x0
	v_fma_mix_f32 v91, v81, v16, v91 op_sel_hi:[0,1,0]
.LBB22_39:                              ;   in Loop: Header=BB22_15 Depth=1
	v_add_nc_u64_e32 v[72:73], v[68:69], v[32:33]
	v_mov_b32_e32 v100, 0
	global_load_b128 v[16:19], v[72:73], off
	s_wait_loadcnt 0x0
	;;#ASMSTART
	v_dot2_f32_f16 v100, v16, v113, v100
	;;#ASMEND
	;;#ASMSTART
	v_dot2_f32_f16 v100, v17, v114, v100
	;;#ASMEND
	;; [unrolled: 3-line block ×4, first 2 shown]
	global_load_b128 v[96:99], v[72:73], off offset:128
	s_wait_loadcnt 0x0
	;;#ASMSTART
	v_dot2_f32_f16 v100, v96, v117, v100
	;;#ASMEND
	;;#ASMSTART
	v_dot2_f32_f16 v100, v97, v118, v100
	;;#ASMEND
	;; [unrolled: 3-line block ×4, first 2 shown]
	ds_bpermute_b32 v92, v93, v100
	s_wait_dscnt 0x0
	v_add_f32_e32 v92, v100, v92
	ds_bpermute_b32 v96, v94, v92
	s_wait_dscnt 0x0
	v_add_f32_e32 v92, v92, v96
	;; [unrolled: 3-line block ×3, first 2 shown]
                                        ; implicit-def: $vgpr96
	s_delay_alu instid0(VALU_DEP_1) | instskip(SKIP_1) | instid1(SALU_CYCLE_1)
	v_cmp_ngt_f32_e64 s24, 0x3f200000, |v92|
	s_and_saveexec_b32 s40, s24
	s_xor_b32 s24, exec_lo, s40
	s_cbranch_execz .LBB22_41
; %bb.40:                               ;   in Loop: Header=BB22_15 Depth=1
	v_add_f32_e64 v96, |v92|, |v92|
	s_delay_alu instid0(VALU_DEP_1) | instskip(SKIP_1) | instid1(VALU_DEP_2)
	v_mul_f32_e32 v97, 0x3fb8aa3b, v96
	v_cmp_ngt_f32_e32 vcc_lo, 0xc2ce8ed0, v96
	v_rndne_f32_e32 v98, v97
	v_fma_f32 v99, 0x3fb8aa3b, v96, -v97
	s_delay_alu instid0(VALU_DEP_2) | instskip(NEXT) | instid1(VALU_DEP_2)
	v_sub_f32_e32 v97, v97, v98
	v_fmac_f32_e32 v99, 0x32a5705f, v96
	v_cvt_i32_f32_e32 v98, v98
	s_delay_alu instid0(VALU_DEP_2) | instskip(NEXT) | instid1(VALU_DEP_1)
	v_add_f32_e32 v97, v97, v99
	v_exp_f32_e32 v97, v97
	v_nop
	s_delay_alu instid0(TRANS32_DEP_1) | instskip(NEXT) | instid1(VALU_DEP_1)
	v_ldexp_f32 v97, v97, v98
	v_cndmask_b32_e32 v97, 0, v97, vcc_lo
	v_cmp_nlt_f32_e32 vcc_lo, 0x42b17218, v96
	s_delay_alu instid0(VALU_DEP_2) | instskip(NEXT) | instid1(VALU_DEP_1)
	v_cndmask_b32_e32 v96, 0x7f800000, v97, vcc_lo
	v_add_f32_e32 v96, 1.0, v96
	s_delay_alu instid0(VALU_DEP_1) | instskip(SKIP_1) | instid1(TRANS32_DEP_1)
	v_rcp_f32_e32 v96, v96
	v_nop
	v_fma_f32 v96, v96, -2.0, 1.0
.LBB22_41:                              ;   in Loop: Header=BB22_15 Depth=1
	s_and_not1_saveexec_b32 s24, s24
	s_cbranch_execz .LBB22_43
; %bb.42:                               ;   in Loop: Header=BB22_15 Depth=1
	v_mul_f32_e32 v96, v92, v92
	s_delay_alu instid0(VALU_DEP_1) | instskip(NEXT) | instid1(VALU_DEP_1)
	v_fmaak_f32 v97, s35, v96, 0x3ca908c9
	v_fmaak_f32 v97, v96, v97, 0xbd5c1c4e
	s_delay_alu instid0(VALU_DEP_1) | instskip(NEXT) | instid1(VALU_DEP_1)
	v_fmaak_f32 v97, v96, v97, 0x3e088382
	v_fmaak_f32 v97, v96, v97, 0xbeaaaa99
	s_delay_alu instid0(VALU_DEP_1) | instskip(NEXT) | instid1(VALU_DEP_1)
	v_mul_f32_e64 v97, |v92|, v97
	v_fma_f32 v96, v96, v97, |v92|
.LBB22_43:                              ;   in Loop: Header=BB22_15 Depth=1
	s_or_b32 exec_lo, exec_lo, s24
	s_delay_alu instid0(VALU_DEP_1) | instskip(SKIP_1) | instid1(VALU_DEP_1)
	v_bfi_b32 v92, 0x7fffffff, v96, v92
	s_and_not1_b32 vcc_lo, exec_lo, s23
	v_mul_f32_e32 v92, s27, v92
	s_cbranch_vccnz .LBB22_45
; %bb.44:                               ;   in Loop: Header=BB22_15 Depth=1
	global_load_u16 v96, v24, s[20:21] offset:4 scale_offset
	s_wait_loadcnt 0x0
	v_fma_mix_f32 v92, v81, v96, v92 op_sel_hi:[0,1,0]
.LBB22_45:                              ;   in Loop: Header=BB22_15 Depth=1
	v_mov_b32_e32 v96, 0
	;;#ASMSTART
	v_dot2_f32_f16 v96, v16, v105, v96
	;;#ASMEND
	;;#ASMSTART
	v_dot2_f32_f16 v96, v17, v106, v96
	;;#ASMEND
	;; [unrolled: 3-line block ×4, first 2 shown]
	global_load_b128 v[16:19], v[72:73], off offset:128
	s_wait_loadcnt 0x0
	;;#ASMSTART
	v_dot2_f32_f16 v96, v16, v109, v96
	;;#ASMEND
	;;#ASMSTART
	v_dot2_f32_f16 v96, v17, v110, v96
	;;#ASMEND
	;; [unrolled: 3-line block ×4, first 2 shown]
	ds_bpermute_b32 v16, v93, v96
	s_wait_dscnt 0x0
	v_add_f32_e32 v16, v96, v16
	ds_bpermute_b32 v17, v94, v16
	s_wait_dscnt 0x0
	v_add_f32_e32 v16, v16, v17
	;; [unrolled: 3-line block ×3, first 2 shown]
                                        ; implicit-def: $vgpr17
	s_delay_alu instid0(VALU_DEP_1) | instskip(SKIP_1) | instid1(SALU_CYCLE_1)
	v_cmp_ngt_f32_e64 s24, 0x3f200000, |v16|
	s_and_saveexec_b32 s40, s24
	s_xor_b32 s24, exec_lo, s40
	s_cbranch_execz .LBB22_47
; %bb.46:                               ;   in Loop: Header=BB22_15 Depth=1
	v_add_f32_e64 v17, |v16|, |v16|
	s_delay_alu instid0(VALU_DEP_1) | instskip(SKIP_1) | instid1(VALU_DEP_2)
	v_mul_f32_e32 v18, 0x3fb8aa3b, v17
	v_cmp_ngt_f32_e32 vcc_lo, 0xc2ce8ed0, v17
	v_rndne_f32_e32 v19, v18
	v_fma_f32 v72, 0x3fb8aa3b, v17, -v18
	s_delay_alu instid0(VALU_DEP_2) | instskip(NEXT) | instid1(VALU_DEP_2)
	v_sub_f32_e32 v18, v18, v19
	v_fmac_f32_e32 v72, 0x32a5705f, v17
	v_cvt_i32_f32_e32 v19, v19
	s_delay_alu instid0(VALU_DEP_2) | instskip(NEXT) | instid1(VALU_DEP_1)
	v_add_f32_e32 v18, v18, v72
	v_exp_f32_e32 v18, v18
	v_nop
	s_delay_alu instid0(TRANS32_DEP_1) | instskip(NEXT) | instid1(VALU_DEP_1)
	v_ldexp_f32 v18, v18, v19
	v_cndmask_b32_e32 v18, 0, v18, vcc_lo
	v_cmp_nlt_f32_e32 vcc_lo, 0x42b17218, v17
	s_delay_alu instid0(VALU_DEP_2) | instskip(NEXT) | instid1(VALU_DEP_1)
	v_cndmask_b32_e32 v17, 0x7f800000, v18, vcc_lo
	v_add_f32_e32 v17, 1.0, v17
	s_delay_alu instid0(VALU_DEP_1) | instskip(SKIP_1) | instid1(TRANS32_DEP_1)
	v_rcp_f32_e32 v17, v17
	v_nop
	v_fma_f32 v17, v17, -2.0, 1.0
.LBB22_47:                              ;   in Loop: Header=BB22_15 Depth=1
	s_and_not1_saveexec_b32 s24, s24
	s_cbranch_execz .LBB22_49
; %bb.48:                               ;   in Loop: Header=BB22_15 Depth=1
	v_mul_f32_e32 v17, v16, v16
	s_delay_alu instid0(VALU_DEP_1) | instskip(NEXT) | instid1(VALU_DEP_1)
	v_fmaak_f32 v18, s35, v17, 0x3ca908c9
	v_fmaak_f32 v18, v17, v18, 0xbd5c1c4e
	s_delay_alu instid0(VALU_DEP_1) | instskip(NEXT) | instid1(VALU_DEP_1)
	v_fmaak_f32 v18, v17, v18, 0x3e088382
	v_fmaak_f32 v18, v17, v18, 0xbeaaaa99
	s_delay_alu instid0(VALU_DEP_1) | instskip(NEXT) | instid1(VALU_DEP_1)
	v_mul_f32_e64 v18, |v16|, v18
	v_fma_f32 v17, v17, v18, |v16|
.LBB22_49:                              ;   in Loop: Header=BB22_15 Depth=1
	s_or_b32 exec_lo, exec_lo, s24
	s_delay_alu instid0(VALU_DEP_1) | instskip(SKIP_1) | instid1(VALU_DEP_1)
	v_bfi_b32 v16, 0x7fffffff, v17, v16
	s_and_not1_b32 vcc_lo, exec_lo, s31
	v_mul_f32_e32 v96, s27, v16
	s_cbranch_vccnz .LBB22_51
; %bb.50:                               ;   in Loop: Header=BB22_15 Depth=1
	global_load_u16 v16, v[70:71], off offset:4
	s_wait_loadcnt 0x0
	v_fma_mix_f32 v96, v81, v16, v96 op_sel_hi:[0,1,0]
.LBB22_51:                              ;   in Loop: Header=BB22_15 Depth=1
	v_add_nc_u64_e32 v[72:73], v[68:69], v[34:35]
	v_mov_b32_e32 v102, 0
	global_load_b128 v[16:19], v[72:73], off
	s_wait_loadcnt 0x0
	;;#ASMSTART
	v_dot2_f32_f16 v102, v16, v113, v102
	;;#ASMEND
	;;#ASMSTART
	v_dot2_f32_f16 v102, v17, v114, v102
	;;#ASMEND
	;; [unrolled: 3-line block ×4, first 2 shown]
	global_load_b128 v[98:101], v[72:73], off offset:128
	s_wait_loadcnt 0x0
	;;#ASMSTART
	v_dot2_f32_f16 v102, v98, v117, v102
	;;#ASMEND
	;;#ASMSTART
	v_dot2_f32_f16 v102, v99, v118, v102
	;;#ASMEND
	;; [unrolled: 3-line block ×4, first 2 shown]
	ds_bpermute_b32 v97, v93, v102
	s_wait_dscnt 0x0
	v_add_f32_e32 v97, v102, v97
	ds_bpermute_b32 v98, v94, v97
	s_wait_dscnt 0x0
	v_add_f32_e32 v97, v97, v98
	;; [unrolled: 3-line block ×3, first 2 shown]
                                        ; implicit-def: $vgpr98
	s_delay_alu instid0(VALU_DEP_1) | instskip(SKIP_1) | instid1(SALU_CYCLE_1)
	v_cmp_ngt_f32_e64 s24, 0x3f200000, |v97|
	s_and_saveexec_b32 s40, s24
	s_xor_b32 s24, exec_lo, s40
	s_cbranch_execz .LBB22_53
; %bb.52:                               ;   in Loop: Header=BB22_15 Depth=1
	v_add_f32_e64 v98, |v97|, |v97|
	s_delay_alu instid0(VALU_DEP_1) | instskip(SKIP_1) | instid1(VALU_DEP_2)
	v_mul_f32_e32 v99, 0x3fb8aa3b, v98
	v_cmp_ngt_f32_e32 vcc_lo, 0xc2ce8ed0, v98
	v_rndne_f32_e32 v100, v99
	v_fma_f32 v101, 0x3fb8aa3b, v98, -v99
	s_delay_alu instid0(VALU_DEP_2) | instskip(NEXT) | instid1(VALU_DEP_2)
	v_sub_f32_e32 v99, v99, v100
	v_fmac_f32_e32 v101, 0x32a5705f, v98
	v_cvt_i32_f32_e32 v100, v100
	s_delay_alu instid0(VALU_DEP_2) | instskip(NEXT) | instid1(VALU_DEP_1)
	v_add_f32_e32 v99, v99, v101
	v_exp_f32_e32 v99, v99
	v_nop
	s_delay_alu instid0(TRANS32_DEP_1) | instskip(NEXT) | instid1(VALU_DEP_1)
	v_ldexp_f32 v99, v99, v100
	v_cndmask_b32_e32 v99, 0, v99, vcc_lo
	v_cmp_nlt_f32_e32 vcc_lo, 0x42b17218, v98
	s_delay_alu instid0(VALU_DEP_2) | instskip(NEXT) | instid1(VALU_DEP_1)
	v_cndmask_b32_e32 v98, 0x7f800000, v99, vcc_lo
	v_add_f32_e32 v98, 1.0, v98
	s_delay_alu instid0(VALU_DEP_1) | instskip(SKIP_1) | instid1(TRANS32_DEP_1)
	v_rcp_f32_e32 v98, v98
	v_nop
	v_fma_f32 v98, v98, -2.0, 1.0
.LBB22_53:                              ;   in Loop: Header=BB22_15 Depth=1
	s_and_not1_saveexec_b32 s24, s24
	s_cbranch_execz .LBB22_55
; %bb.54:                               ;   in Loop: Header=BB22_15 Depth=1
	v_mul_f32_e32 v98, v97, v97
	s_delay_alu instid0(VALU_DEP_1) | instskip(NEXT) | instid1(VALU_DEP_1)
	v_fmaak_f32 v99, s35, v98, 0x3ca908c9
	v_fmaak_f32 v99, v98, v99, 0xbd5c1c4e
	s_delay_alu instid0(VALU_DEP_1) | instskip(NEXT) | instid1(VALU_DEP_1)
	v_fmaak_f32 v99, v98, v99, 0x3e088382
	v_fmaak_f32 v99, v98, v99, 0xbeaaaa99
	s_delay_alu instid0(VALU_DEP_1) | instskip(NEXT) | instid1(VALU_DEP_1)
	v_mul_f32_e64 v99, |v97|, v99
	v_fma_f32 v98, v98, v99, |v97|
.LBB22_55:                              ;   in Loop: Header=BB22_15 Depth=1
	s_or_b32 exec_lo, exec_lo, s24
	s_delay_alu instid0(VALU_DEP_1) | instskip(SKIP_1) | instid1(VALU_DEP_1)
	v_bfi_b32 v97, 0x7fffffff, v98, v97
	s_and_not1_b32 vcc_lo, exec_lo, s23
	v_mul_f32_e32 v97, s27, v97
	s_cbranch_vccnz .LBB22_57
; %bb.56:                               ;   in Loop: Header=BB22_15 Depth=1
	global_load_u16 v98, v24, s[20:21] offset:6 scale_offset
	s_wait_loadcnt 0x0
	v_fma_mix_f32 v97, v81, v98, v97 op_sel_hi:[0,1,0]
.LBB22_57:                              ;   in Loop: Header=BB22_15 Depth=1
	v_mov_b32_e32 v98, 0
	;;#ASMSTART
	v_dot2_f32_f16 v98, v16, v105, v98
	;;#ASMEND
	;;#ASMSTART
	v_dot2_f32_f16 v98, v17, v106, v98
	;;#ASMEND
	;; [unrolled: 3-line block ×4, first 2 shown]
	global_load_b128 v[16:19], v[72:73], off offset:128
	s_wait_loadcnt 0x0
	;;#ASMSTART
	v_dot2_f32_f16 v98, v16, v109, v98
	;;#ASMEND
	;;#ASMSTART
	v_dot2_f32_f16 v98, v17, v110, v98
	;;#ASMEND
	;; [unrolled: 3-line block ×4, first 2 shown]
	ds_bpermute_b32 v16, v93, v98
	s_wait_dscnt 0x0
	v_add_f32_e32 v16, v98, v16
	ds_bpermute_b32 v17, v94, v16
	s_wait_dscnt 0x0
	v_add_f32_e32 v16, v16, v17
	;; [unrolled: 3-line block ×3, first 2 shown]
                                        ; implicit-def: $vgpr17
	s_delay_alu instid0(VALU_DEP_1) | instskip(SKIP_1) | instid1(SALU_CYCLE_1)
	v_cmp_ngt_f32_e64 s24, 0x3f200000, |v16|
	s_and_saveexec_b32 s40, s24
	s_xor_b32 s24, exec_lo, s40
	s_cbranch_execz .LBB22_59
; %bb.58:                               ;   in Loop: Header=BB22_15 Depth=1
	v_add_f32_e64 v17, |v16|, |v16|
	s_delay_alu instid0(VALU_DEP_1) | instskip(SKIP_1) | instid1(VALU_DEP_2)
	v_mul_f32_e32 v18, 0x3fb8aa3b, v17
	v_cmp_ngt_f32_e32 vcc_lo, 0xc2ce8ed0, v17
	v_rndne_f32_e32 v19, v18
	v_fma_f32 v72, 0x3fb8aa3b, v17, -v18
	s_delay_alu instid0(VALU_DEP_2) | instskip(NEXT) | instid1(VALU_DEP_2)
	v_sub_f32_e32 v18, v18, v19
	v_fmac_f32_e32 v72, 0x32a5705f, v17
	v_cvt_i32_f32_e32 v19, v19
	s_delay_alu instid0(VALU_DEP_2) | instskip(NEXT) | instid1(VALU_DEP_1)
	v_add_f32_e32 v18, v18, v72
	v_exp_f32_e32 v18, v18
	v_nop
	s_delay_alu instid0(TRANS32_DEP_1) | instskip(NEXT) | instid1(VALU_DEP_1)
	v_ldexp_f32 v18, v18, v19
	v_cndmask_b32_e32 v18, 0, v18, vcc_lo
	v_cmp_nlt_f32_e32 vcc_lo, 0x42b17218, v17
	s_delay_alu instid0(VALU_DEP_2) | instskip(NEXT) | instid1(VALU_DEP_1)
	v_cndmask_b32_e32 v17, 0x7f800000, v18, vcc_lo
	v_add_f32_e32 v17, 1.0, v17
	s_delay_alu instid0(VALU_DEP_1) | instskip(SKIP_1) | instid1(TRANS32_DEP_1)
	v_rcp_f32_e32 v17, v17
	v_nop
	v_fma_f32 v17, v17, -2.0, 1.0
.LBB22_59:                              ;   in Loop: Header=BB22_15 Depth=1
	s_and_not1_saveexec_b32 s24, s24
	s_cbranch_execz .LBB22_61
; %bb.60:                               ;   in Loop: Header=BB22_15 Depth=1
	v_mul_f32_e32 v17, v16, v16
	s_delay_alu instid0(VALU_DEP_1) | instskip(NEXT) | instid1(VALU_DEP_1)
	v_fmaak_f32 v18, s35, v17, 0x3ca908c9
	v_fmaak_f32 v18, v17, v18, 0xbd5c1c4e
	s_delay_alu instid0(VALU_DEP_1) | instskip(NEXT) | instid1(VALU_DEP_1)
	v_fmaak_f32 v18, v17, v18, 0x3e088382
	v_fmaak_f32 v18, v17, v18, 0xbeaaaa99
	s_delay_alu instid0(VALU_DEP_1) | instskip(NEXT) | instid1(VALU_DEP_1)
	v_mul_f32_e64 v18, |v16|, v18
	v_fma_f32 v17, v17, v18, |v16|
.LBB22_61:                              ;   in Loop: Header=BB22_15 Depth=1
	s_or_b32 exec_lo, exec_lo, s24
	s_delay_alu instid0(VALU_DEP_1) | instskip(SKIP_1) | instid1(VALU_DEP_1)
	v_bfi_b32 v16, 0x7fffffff, v17, v16
	s_and_not1_b32 vcc_lo, exec_lo, s31
	v_mul_f32_e32 v98, s27, v16
	s_cbranch_vccnz .LBB22_63
; %bb.62:                               ;   in Loop: Header=BB22_15 Depth=1
	global_load_u16 v16, v[70:71], off offset:6
	s_wait_loadcnt 0x0
	v_fma_mix_f32 v98, v81, v16, v98 op_sel_hi:[0,1,0]
.LBB22_63:                              ;   in Loop: Header=BB22_15 Depth=1
	v_add_nc_u64_e32 v[72:73], v[68:69], v[38:39]
	v_mov_b32_e32 v104, 0
	global_load_b128 v[16:19], v[72:73], off
	s_wait_loadcnt 0x0
	;;#ASMSTART
	v_dot2_f32_f16 v104, v16, v113, v104
	;;#ASMEND
	;;#ASMSTART
	v_dot2_f32_f16 v104, v17, v114, v104
	;;#ASMEND
	;; [unrolled: 3-line block ×4, first 2 shown]
	global_load_b128 v[100:103], v[72:73], off offset:128
	s_wait_loadcnt 0x0
	;;#ASMSTART
	v_dot2_f32_f16 v104, v100, v117, v104
	;;#ASMEND
	;;#ASMSTART
	v_dot2_f32_f16 v104, v101, v118, v104
	;;#ASMEND
	;; [unrolled: 3-line block ×4, first 2 shown]
	ds_bpermute_b32 v99, v93, v104
	s_wait_dscnt 0x0
	v_add_f32_e32 v99, v104, v99
	ds_bpermute_b32 v100, v94, v99
	s_wait_dscnt 0x0
	v_add_f32_e32 v99, v99, v100
	;; [unrolled: 3-line block ×3, first 2 shown]
                                        ; implicit-def: $vgpr100
	s_delay_alu instid0(VALU_DEP_1) | instskip(SKIP_1) | instid1(SALU_CYCLE_1)
	v_cmp_ngt_f32_e64 s24, 0x3f200000, |v99|
	s_and_saveexec_b32 s40, s24
	s_xor_b32 s24, exec_lo, s40
	s_cbranch_execz .LBB22_65
; %bb.64:                               ;   in Loop: Header=BB22_15 Depth=1
	v_add_f32_e64 v100, |v99|, |v99|
	s_delay_alu instid0(VALU_DEP_1) | instskip(SKIP_1) | instid1(VALU_DEP_2)
	v_mul_f32_e32 v101, 0x3fb8aa3b, v100
	v_cmp_ngt_f32_e32 vcc_lo, 0xc2ce8ed0, v100
	v_rndne_f32_e32 v102, v101
	v_fma_f32 v103, 0x3fb8aa3b, v100, -v101
	s_delay_alu instid0(VALU_DEP_2) | instskip(NEXT) | instid1(VALU_DEP_2)
	v_sub_f32_e32 v101, v101, v102
	v_fmac_f32_e32 v103, 0x32a5705f, v100
	v_cvt_i32_f32_e32 v102, v102
	s_delay_alu instid0(VALU_DEP_2) | instskip(NEXT) | instid1(VALU_DEP_1)
	v_add_f32_e32 v101, v101, v103
	v_exp_f32_e32 v101, v101
	v_nop
	s_delay_alu instid0(TRANS32_DEP_1) | instskip(NEXT) | instid1(VALU_DEP_1)
	v_ldexp_f32 v101, v101, v102
	v_cndmask_b32_e32 v101, 0, v101, vcc_lo
	v_cmp_nlt_f32_e32 vcc_lo, 0x42b17218, v100
	s_delay_alu instid0(VALU_DEP_2) | instskip(NEXT) | instid1(VALU_DEP_1)
	v_cndmask_b32_e32 v100, 0x7f800000, v101, vcc_lo
	v_add_f32_e32 v100, 1.0, v100
	s_delay_alu instid0(VALU_DEP_1) | instskip(SKIP_1) | instid1(TRANS32_DEP_1)
	v_rcp_f32_e32 v100, v100
	v_nop
	v_fma_f32 v100, v100, -2.0, 1.0
.LBB22_65:                              ;   in Loop: Header=BB22_15 Depth=1
	s_and_not1_saveexec_b32 s24, s24
	s_cbranch_execz .LBB22_67
; %bb.66:                               ;   in Loop: Header=BB22_15 Depth=1
	v_mul_f32_e32 v100, v99, v99
	s_delay_alu instid0(VALU_DEP_1) | instskip(NEXT) | instid1(VALU_DEP_1)
	v_fmaak_f32 v101, s35, v100, 0x3ca908c9
	v_fmaak_f32 v101, v100, v101, 0xbd5c1c4e
	s_delay_alu instid0(VALU_DEP_1) | instskip(NEXT) | instid1(VALU_DEP_1)
	v_fmaak_f32 v101, v100, v101, 0x3e088382
	v_fmaak_f32 v101, v100, v101, 0xbeaaaa99
	s_delay_alu instid0(VALU_DEP_1) | instskip(NEXT) | instid1(VALU_DEP_1)
	v_mul_f32_e64 v101, |v99|, v101
	v_fma_f32 v100, v100, v101, |v99|
.LBB22_67:                              ;   in Loop: Header=BB22_15 Depth=1
	s_or_b32 exec_lo, exec_lo, s24
	s_delay_alu instid0(VALU_DEP_1) | instskip(SKIP_1) | instid1(VALU_DEP_1)
	v_bfi_b32 v99, 0x7fffffff, v100, v99
	s_and_not1_b32 vcc_lo, exec_lo, s23
	v_mul_f32_e32 v99, s27, v99
	s_cbranch_vccnz .LBB22_69
; %bb.68:                               ;   in Loop: Header=BB22_15 Depth=1
	global_load_u16 v100, v24, s[20:21] offset:8 scale_offset
	s_wait_loadcnt 0x0
	v_fma_mix_f32 v99, v81, v100, v99 op_sel_hi:[0,1,0]
.LBB22_69:                              ;   in Loop: Header=BB22_15 Depth=1
	v_mov_b32_e32 v100, 0
	;;#ASMSTART
	v_dot2_f32_f16 v100, v16, v105, v100
	;;#ASMEND
	;;#ASMSTART
	v_dot2_f32_f16 v100, v17, v106, v100
	;;#ASMEND
	;; [unrolled: 3-line block ×4, first 2 shown]
	global_load_b128 v[16:19], v[72:73], off offset:128
	s_wait_loadcnt 0x0
	;;#ASMSTART
	v_dot2_f32_f16 v100, v16, v109, v100
	;;#ASMEND
	;;#ASMSTART
	v_dot2_f32_f16 v100, v17, v110, v100
	;;#ASMEND
	;; [unrolled: 3-line block ×4, first 2 shown]
	ds_bpermute_b32 v16, v93, v100
	s_wait_dscnt 0x0
	v_add_f32_e32 v16, v100, v16
	ds_bpermute_b32 v17, v94, v16
	s_wait_dscnt 0x0
	v_add_f32_e32 v16, v16, v17
	;; [unrolled: 3-line block ×3, first 2 shown]
                                        ; implicit-def: $vgpr17
	s_delay_alu instid0(VALU_DEP_1) | instskip(SKIP_1) | instid1(SALU_CYCLE_1)
	v_cmp_ngt_f32_e64 s24, 0x3f200000, |v16|
	s_and_saveexec_b32 s40, s24
	s_xor_b32 s24, exec_lo, s40
	s_cbranch_execz .LBB22_71
; %bb.70:                               ;   in Loop: Header=BB22_15 Depth=1
	v_add_f32_e64 v17, |v16|, |v16|
	s_delay_alu instid0(VALU_DEP_1) | instskip(SKIP_1) | instid1(VALU_DEP_2)
	v_mul_f32_e32 v18, 0x3fb8aa3b, v17
	v_cmp_ngt_f32_e32 vcc_lo, 0xc2ce8ed0, v17
	v_rndne_f32_e32 v19, v18
	v_fma_f32 v72, 0x3fb8aa3b, v17, -v18
	s_delay_alu instid0(VALU_DEP_2) | instskip(NEXT) | instid1(VALU_DEP_2)
	v_sub_f32_e32 v18, v18, v19
	v_fmac_f32_e32 v72, 0x32a5705f, v17
	v_cvt_i32_f32_e32 v19, v19
	s_delay_alu instid0(VALU_DEP_2) | instskip(NEXT) | instid1(VALU_DEP_1)
	v_add_f32_e32 v18, v18, v72
	v_exp_f32_e32 v18, v18
	v_nop
	s_delay_alu instid0(TRANS32_DEP_1) | instskip(NEXT) | instid1(VALU_DEP_1)
	v_ldexp_f32 v18, v18, v19
	v_cndmask_b32_e32 v18, 0, v18, vcc_lo
	v_cmp_nlt_f32_e32 vcc_lo, 0x42b17218, v17
	s_delay_alu instid0(VALU_DEP_2) | instskip(NEXT) | instid1(VALU_DEP_1)
	v_cndmask_b32_e32 v17, 0x7f800000, v18, vcc_lo
	v_add_f32_e32 v17, 1.0, v17
	s_delay_alu instid0(VALU_DEP_1) | instskip(SKIP_1) | instid1(TRANS32_DEP_1)
	v_rcp_f32_e32 v17, v17
	v_nop
	v_fma_f32 v17, v17, -2.0, 1.0
.LBB22_71:                              ;   in Loop: Header=BB22_15 Depth=1
	s_and_not1_saveexec_b32 s24, s24
	s_cbranch_execz .LBB22_73
; %bb.72:                               ;   in Loop: Header=BB22_15 Depth=1
	v_mul_f32_e32 v17, v16, v16
	s_delay_alu instid0(VALU_DEP_1) | instskip(NEXT) | instid1(VALU_DEP_1)
	v_fmaak_f32 v18, s35, v17, 0x3ca908c9
	v_fmaak_f32 v18, v17, v18, 0xbd5c1c4e
	s_delay_alu instid0(VALU_DEP_1) | instskip(NEXT) | instid1(VALU_DEP_1)
	v_fmaak_f32 v18, v17, v18, 0x3e088382
	v_fmaak_f32 v18, v17, v18, 0xbeaaaa99
	s_delay_alu instid0(VALU_DEP_1) | instskip(NEXT) | instid1(VALU_DEP_1)
	v_mul_f32_e64 v18, |v16|, v18
	v_fma_f32 v17, v17, v18, |v16|
.LBB22_73:                              ;   in Loop: Header=BB22_15 Depth=1
	s_or_b32 exec_lo, exec_lo, s24
	s_delay_alu instid0(VALU_DEP_1) | instskip(SKIP_1) | instid1(VALU_DEP_1)
	v_bfi_b32 v16, 0x7fffffff, v17, v16
	s_and_not1_b32 vcc_lo, exec_lo, s31
	v_mul_f32_e32 v100, s27, v16
	s_cbranch_vccnz .LBB22_75
; %bb.74:                               ;   in Loop: Header=BB22_15 Depth=1
	global_load_u16 v16, v[70:71], off offset:8
	s_wait_loadcnt 0x0
	v_fma_mix_f32 v100, v81, v16, v100 op_sel_hi:[0,1,0]
.LBB22_75:                              ;   in Loop: Header=BB22_15 Depth=1
	v_add_nc_u64_e32 v[72:73], v[68:69], v[40:41]
	v_mov_b32_e32 v102, 0
	global_load_b128 v[16:19], v[72:73], off
	s_wait_loadcnt 0x0
	;;#ASMSTART
	v_dot2_f32_f16 v102, v16, v113, v102
	;;#ASMEND
	;;#ASMSTART
	v_dot2_f32_f16 v102, v17, v114, v102
	;;#ASMEND
	;; [unrolled: 3-line block ×4, first 2 shown]
	global_load_b128 v[122:125], v[72:73], off offset:128
	s_wait_loadcnt 0x0
	;;#ASMSTART
	v_dot2_f32_f16 v102, v122, v117, v102
	;;#ASMEND
	;;#ASMSTART
	v_dot2_f32_f16 v102, v123, v118, v102
	;;#ASMEND
	;; [unrolled: 3-line block ×4, first 2 shown]
	ds_bpermute_b32 v101, v93, v102
	s_wait_dscnt 0x0
	v_add_f32_e32 v101, v102, v101
	ds_bpermute_b32 v102, v94, v101
	s_wait_dscnt 0x0
	v_add_f32_e32 v101, v101, v102
	;; [unrolled: 3-line block ×3, first 2 shown]
                                        ; implicit-def: $vgpr102
	s_delay_alu instid0(VALU_DEP_1) | instskip(SKIP_1) | instid1(SALU_CYCLE_1)
	v_cmp_ngt_f32_e64 s24, 0x3f200000, |v101|
	s_and_saveexec_b32 s40, s24
	s_xor_b32 s24, exec_lo, s40
	s_cbranch_execz .LBB22_77
; %bb.76:                               ;   in Loop: Header=BB22_15 Depth=1
	v_add_f32_e64 v102, |v101|, |v101|
	s_delay_alu instid0(VALU_DEP_1) | instskip(SKIP_1) | instid1(VALU_DEP_2)
	v_mul_f32_e32 v103, 0x3fb8aa3b, v102
	v_cmp_ngt_f32_e32 vcc_lo, 0xc2ce8ed0, v102
	v_rndne_f32_e32 v104, v103
	v_fma_f32 v121, 0x3fb8aa3b, v102, -v103
	s_delay_alu instid0(VALU_DEP_2) | instskip(NEXT) | instid1(VALU_DEP_2)
	v_sub_f32_e32 v103, v103, v104
	v_fmac_f32_e32 v121, 0x32a5705f, v102
	v_cvt_i32_f32_e32 v104, v104
	s_delay_alu instid0(VALU_DEP_2) | instskip(NEXT) | instid1(VALU_DEP_1)
	v_add_f32_e32 v103, v103, v121
	v_exp_f32_e32 v103, v103
	v_nop
	s_delay_alu instid0(TRANS32_DEP_1) | instskip(NEXT) | instid1(VALU_DEP_1)
	v_ldexp_f32 v103, v103, v104
	v_cndmask_b32_e32 v103, 0, v103, vcc_lo
	v_cmp_nlt_f32_e32 vcc_lo, 0x42b17218, v102
	s_delay_alu instid0(VALU_DEP_2) | instskip(NEXT) | instid1(VALU_DEP_1)
	v_cndmask_b32_e32 v102, 0x7f800000, v103, vcc_lo
	v_add_f32_e32 v102, 1.0, v102
	s_delay_alu instid0(VALU_DEP_1) | instskip(SKIP_1) | instid1(TRANS32_DEP_1)
	v_rcp_f32_e32 v102, v102
	v_nop
	v_fma_f32 v102, v102, -2.0, 1.0
.LBB22_77:                              ;   in Loop: Header=BB22_15 Depth=1
	s_and_not1_saveexec_b32 s24, s24
	s_cbranch_execz .LBB22_79
; %bb.78:                               ;   in Loop: Header=BB22_15 Depth=1
	v_mul_f32_e32 v102, v101, v101
	s_delay_alu instid0(VALU_DEP_1) | instskip(NEXT) | instid1(VALU_DEP_1)
	v_fmaak_f32 v103, s35, v102, 0x3ca908c9
	v_fmaak_f32 v103, v102, v103, 0xbd5c1c4e
	s_delay_alu instid0(VALU_DEP_1) | instskip(NEXT) | instid1(VALU_DEP_1)
	v_fmaak_f32 v103, v102, v103, 0x3e088382
	v_fmaak_f32 v103, v102, v103, 0xbeaaaa99
	s_delay_alu instid0(VALU_DEP_1) | instskip(NEXT) | instid1(VALU_DEP_1)
	v_mul_f32_e64 v103, |v101|, v103
	v_fma_f32 v102, v102, v103, |v101|
.LBB22_79:                              ;   in Loop: Header=BB22_15 Depth=1
	s_or_b32 exec_lo, exec_lo, s24
	s_delay_alu instid0(VALU_DEP_1) | instskip(SKIP_1) | instid1(VALU_DEP_1)
	v_bfi_b32 v101, 0x7fffffff, v102, v101
	s_and_not1_b32 vcc_lo, exec_lo, s23
	v_mul_f32_e32 v101, s27, v101
	s_cbranch_vccnz .LBB22_81
; %bb.80:                               ;   in Loop: Header=BB22_15 Depth=1
	global_load_u16 v102, v24, s[20:21] offset:10 scale_offset
	s_wait_loadcnt 0x0
	v_fma_mix_f32 v101, v81, v102, v101 op_sel_hi:[0,1,0]
.LBB22_81:                              ;   in Loop: Header=BB22_15 Depth=1
	v_mov_b32_e32 v102, 0
	;;#ASMSTART
	v_dot2_f32_f16 v102, v16, v105, v102
	;;#ASMEND
	;;#ASMSTART
	v_dot2_f32_f16 v102, v17, v106, v102
	;;#ASMEND
	;; [unrolled: 3-line block ×4, first 2 shown]
	global_load_b128 v[16:19], v[72:73], off offset:128
	s_wait_loadcnt 0x0
	;;#ASMSTART
	v_dot2_f32_f16 v102, v16, v109, v102
	;;#ASMEND
	;;#ASMSTART
	v_dot2_f32_f16 v102, v17, v110, v102
	;;#ASMEND
	;; [unrolled: 3-line block ×4, first 2 shown]
	ds_bpermute_b32 v16, v93, v102
	s_wait_dscnt 0x0
	v_add_f32_e32 v16, v102, v16
	ds_bpermute_b32 v17, v94, v16
	s_wait_dscnt 0x0
	v_add_f32_e32 v16, v16, v17
	;; [unrolled: 3-line block ×3, first 2 shown]
                                        ; implicit-def: $vgpr17
	s_delay_alu instid0(VALU_DEP_1) | instskip(SKIP_1) | instid1(SALU_CYCLE_1)
	v_cmp_ngt_f32_e64 s24, 0x3f200000, |v16|
	s_and_saveexec_b32 s40, s24
	s_xor_b32 s24, exec_lo, s40
	s_cbranch_execz .LBB22_83
; %bb.82:                               ;   in Loop: Header=BB22_15 Depth=1
	v_add_f32_e64 v17, |v16|, |v16|
	s_delay_alu instid0(VALU_DEP_1) | instskip(SKIP_1) | instid1(VALU_DEP_2)
	v_mul_f32_e32 v18, 0x3fb8aa3b, v17
	v_cmp_ngt_f32_e32 vcc_lo, 0xc2ce8ed0, v17
	v_rndne_f32_e32 v19, v18
	v_fma_f32 v72, 0x3fb8aa3b, v17, -v18
	s_delay_alu instid0(VALU_DEP_2) | instskip(NEXT) | instid1(VALU_DEP_2)
	v_sub_f32_e32 v18, v18, v19
	v_fmac_f32_e32 v72, 0x32a5705f, v17
	v_cvt_i32_f32_e32 v19, v19
	s_delay_alu instid0(VALU_DEP_2) | instskip(NEXT) | instid1(VALU_DEP_1)
	v_add_f32_e32 v18, v18, v72
	v_exp_f32_e32 v18, v18
	v_nop
	s_delay_alu instid0(TRANS32_DEP_1) | instskip(NEXT) | instid1(VALU_DEP_1)
	v_ldexp_f32 v18, v18, v19
	v_cndmask_b32_e32 v18, 0, v18, vcc_lo
	v_cmp_nlt_f32_e32 vcc_lo, 0x42b17218, v17
	s_delay_alu instid0(VALU_DEP_2) | instskip(NEXT) | instid1(VALU_DEP_1)
	v_cndmask_b32_e32 v17, 0x7f800000, v18, vcc_lo
	v_add_f32_e32 v17, 1.0, v17
	s_delay_alu instid0(VALU_DEP_1) | instskip(SKIP_1) | instid1(TRANS32_DEP_1)
	v_rcp_f32_e32 v17, v17
	v_nop
	v_fma_f32 v17, v17, -2.0, 1.0
.LBB22_83:                              ;   in Loop: Header=BB22_15 Depth=1
	s_and_not1_saveexec_b32 s24, s24
	s_cbranch_execz .LBB22_85
; %bb.84:                               ;   in Loop: Header=BB22_15 Depth=1
	v_mul_f32_e32 v17, v16, v16
	s_delay_alu instid0(VALU_DEP_1) | instskip(NEXT) | instid1(VALU_DEP_1)
	v_fmaak_f32 v18, s35, v17, 0x3ca908c9
	v_fmaak_f32 v18, v17, v18, 0xbd5c1c4e
	s_delay_alu instid0(VALU_DEP_1) | instskip(NEXT) | instid1(VALU_DEP_1)
	v_fmaak_f32 v18, v17, v18, 0x3e088382
	v_fmaak_f32 v18, v17, v18, 0xbeaaaa99
	s_delay_alu instid0(VALU_DEP_1) | instskip(NEXT) | instid1(VALU_DEP_1)
	v_mul_f32_e64 v18, |v16|, v18
	v_fma_f32 v17, v17, v18, |v16|
.LBB22_85:                              ;   in Loop: Header=BB22_15 Depth=1
	s_or_b32 exec_lo, exec_lo, s24
	s_delay_alu instid0(VALU_DEP_1) | instskip(SKIP_1) | instid1(VALU_DEP_1)
	v_bfi_b32 v16, 0x7fffffff, v17, v16
	s_and_not1_b32 vcc_lo, exec_lo, s31
	v_mul_f32_e32 v102, s27, v16
	s_cbranch_vccnz .LBB22_87
; %bb.86:                               ;   in Loop: Header=BB22_15 Depth=1
	global_load_u16 v16, v[70:71], off offset:10
	s_wait_loadcnt 0x0
	v_fma_mix_f32 v102, v81, v16, v102 op_sel_hi:[0,1,0]
.LBB22_87:                              ;   in Loop: Header=BB22_15 Depth=1
	v_add_nc_u64_e32 v[72:73], v[68:69], v[42:43]
	v_mov_b32_e32 v104, 0
	global_load_b128 v[16:19], v[72:73], off
	s_wait_loadcnt 0x0
	;;#ASMSTART
	v_dot2_f32_f16 v104, v16, v113, v104
	;;#ASMEND
	;;#ASMSTART
	v_dot2_f32_f16 v104, v17, v114, v104
	;;#ASMEND
	;; [unrolled: 3-line block ×4, first 2 shown]
	global_load_b128 v[122:125], v[72:73], off offset:128
	s_wait_loadcnt 0x0
	;;#ASMSTART
	v_dot2_f32_f16 v104, v122, v117, v104
	;;#ASMEND
	;;#ASMSTART
	v_dot2_f32_f16 v104, v123, v118, v104
	;;#ASMEND
	;;#ASMSTART
	v_dot2_f32_f16 v104, v124, v119, v104
	;;#ASMEND
	;;#ASMSTART
	v_dot2_f32_f16 v104, v125, v120, v104
	;;#ASMEND
	ds_bpermute_b32 v103, v93, v104
	s_wait_dscnt 0x0
	v_add_f32_e32 v103, v104, v103
	ds_bpermute_b32 v104, v94, v103
	s_wait_dscnt 0x0
	v_add_f32_e32 v103, v103, v104
	;; [unrolled: 3-line block ×3, first 2 shown]
                                        ; implicit-def: $vgpr104
	s_delay_alu instid0(VALU_DEP_1) | instskip(SKIP_1) | instid1(SALU_CYCLE_1)
	v_cmp_ngt_f32_e64 s24, 0x3f200000, |v103|
	s_and_saveexec_b32 s40, s24
	s_xor_b32 s24, exec_lo, s40
	s_cbranch_execz .LBB22_89
; %bb.88:                               ;   in Loop: Header=BB22_15 Depth=1
	v_add_f32_e64 v104, |v103|, |v103|
	s_delay_alu instid0(VALU_DEP_1) | instskip(SKIP_1) | instid1(VALU_DEP_2)
	v_mul_f32_e32 v121, 0x3fb8aa3b, v104
	v_cmp_ngt_f32_e32 vcc_lo, 0xc2ce8ed0, v104
	v_rndne_f32_e32 v122, v121
	v_fma_f32 v123, 0x3fb8aa3b, v104, -v121
	s_delay_alu instid0(VALU_DEP_2) | instskip(NEXT) | instid1(VALU_DEP_2)
	v_sub_f32_e32 v121, v121, v122
	v_fmac_f32_e32 v123, 0x32a5705f, v104
	v_cvt_i32_f32_e32 v122, v122
	s_delay_alu instid0(VALU_DEP_2) | instskip(NEXT) | instid1(VALU_DEP_1)
	v_add_f32_e32 v121, v121, v123
	v_exp_f32_e32 v121, v121
	v_nop
	s_delay_alu instid0(TRANS32_DEP_1) | instskip(NEXT) | instid1(VALU_DEP_1)
	v_ldexp_f32 v121, v121, v122
	v_cndmask_b32_e32 v121, 0, v121, vcc_lo
	v_cmp_nlt_f32_e32 vcc_lo, 0x42b17218, v104
	s_delay_alu instid0(VALU_DEP_2) | instskip(NEXT) | instid1(VALU_DEP_1)
	v_cndmask_b32_e32 v104, 0x7f800000, v121, vcc_lo
	v_add_f32_e32 v104, 1.0, v104
	s_delay_alu instid0(VALU_DEP_1) | instskip(SKIP_1) | instid1(TRANS32_DEP_1)
	v_rcp_f32_e32 v104, v104
	v_nop
	v_fma_f32 v104, v104, -2.0, 1.0
.LBB22_89:                              ;   in Loop: Header=BB22_15 Depth=1
	s_and_not1_saveexec_b32 s24, s24
	s_cbranch_execz .LBB22_91
; %bb.90:                               ;   in Loop: Header=BB22_15 Depth=1
	v_mul_f32_e32 v104, v103, v103
	s_delay_alu instid0(VALU_DEP_1) | instskip(NEXT) | instid1(VALU_DEP_1)
	v_fmaak_f32 v121, s35, v104, 0x3ca908c9
	v_fmaak_f32 v121, v104, v121, 0xbd5c1c4e
	s_delay_alu instid0(VALU_DEP_1) | instskip(NEXT) | instid1(VALU_DEP_1)
	v_fmaak_f32 v121, v104, v121, 0x3e088382
	v_fmaak_f32 v121, v104, v121, 0xbeaaaa99
	s_delay_alu instid0(VALU_DEP_1) | instskip(NEXT) | instid1(VALU_DEP_1)
	v_mul_f32_e64 v121, |v103|, v121
	v_fma_f32 v104, v104, v121, |v103|
.LBB22_91:                              ;   in Loop: Header=BB22_15 Depth=1
	s_or_b32 exec_lo, exec_lo, s24
	s_delay_alu instid0(VALU_DEP_1) | instskip(SKIP_1) | instid1(VALU_DEP_1)
	v_bfi_b32 v103, 0x7fffffff, v104, v103
	s_and_not1_b32 vcc_lo, exec_lo, s23
	v_mul_f32_e32 v103, s27, v103
	s_cbranch_vccnz .LBB22_93
; %bb.92:                               ;   in Loop: Header=BB22_15 Depth=1
	global_load_u16 v104, v24, s[20:21] offset:12 scale_offset
	s_wait_loadcnt 0x0
	v_fma_mix_f32 v103, v81, v104, v103 op_sel_hi:[0,1,0]
.LBB22_93:                              ;   in Loop: Header=BB22_15 Depth=1
	v_mov_b32_e32 v104, 0
	;;#ASMSTART
	v_dot2_f32_f16 v104, v16, v105, v104
	;;#ASMEND
	;;#ASMSTART
	v_dot2_f32_f16 v104, v17, v106, v104
	;;#ASMEND
	;; [unrolled: 3-line block ×4, first 2 shown]
	global_load_b128 v[16:19], v[72:73], off offset:128
	s_wait_loadcnt 0x0
	;;#ASMSTART
	v_dot2_f32_f16 v104, v16, v109, v104
	;;#ASMEND
	;;#ASMSTART
	v_dot2_f32_f16 v104, v17, v110, v104
	;;#ASMEND
	;; [unrolled: 3-line block ×4, first 2 shown]
	ds_bpermute_b32 v16, v93, v104
	s_wait_dscnt 0x0
	v_add_f32_e32 v16, v104, v16
	ds_bpermute_b32 v17, v94, v16
	s_wait_dscnt 0x0
	v_add_f32_e32 v16, v16, v17
	;; [unrolled: 3-line block ×3, first 2 shown]
                                        ; implicit-def: $vgpr17
	s_delay_alu instid0(VALU_DEP_1) | instskip(SKIP_1) | instid1(SALU_CYCLE_1)
	v_cmp_ngt_f32_e64 s24, 0x3f200000, |v16|
	s_and_saveexec_b32 s40, s24
	s_xor_b32 s24, exec_lo, s40
	s_cbranch_execz .LBB22_95
; %bb.94:                               ;   in Loop: Header=BB22_15 Depth=1
	v_add_f32_e64 v17, |v16|, |v16|
	s_delay_alu instid0(VALU_DEP_1) | instskip(SKIP_1) | instid1(VALU_DEP_2)
	v_mul_f32_e32 v18, 0x3fb8aa3b, v17
	v_cmp_ngt_f32_e32 vcc_lo, 0xc2ce8ed0, v17
	v_rndne_f32_e32 v19, v18
	v_fma_f32 v72, 0x3fb8aa3b, v17, -v18
	s_delay_alu instid0(VALU_DEP_2) | instskip(NEXT) | instid1(VALU_DEP_2)
	v_sub_f32_e32 v18, v18, v19
	v_fmac_f32_e32 v72, 0x32a5705f, v17
	v_cvt_i32_f32_e32 v19, v19
	s_delay_alu instid0(VALU_DEP_2) | instskip(NEXT) | instid1(VALU_DEP_1)
	v_add_f32_e32 v18, v18, v72
	v_exp_f32_e32 v18, v18
	v_nop
	s_delay_alu instid0(TRANS32_DEP_1) | instskip(NEXT) | instid1(VALU_DEP_1)
	v_ldexp_f32 v18, v18, v19
	v_cndmask_b32_e32 v18, 0, v18, vcc_lo
	v_cmp_nlt_f32_e32 vcc_lo, 0x42b17218, v17
	s_delay_alu instid0(VALU_DEP_2) | instskip(NEXT) | instid1(VALU_DEP_1)
	v_cndmask_b32_e32 v17, 0x7f800000, v18, vcc_lo
	v_add_f32_e32 v17, 1.0, v17
	s_delay_alu instid0(VALU_DEP_1) | instskip(SKIP_1) | instid1(TRANS32_DEP_1)
	v_rcp_f32_e32 v17, v17
	v_nop
	v_fma_f32 v17, v17, -2.0, 1.0
.LBB22_95:                              ;   in Loop: Header=BB22_15 Depth=1
	s_and_not1_saveexec_b32 s24, s24
	s_cbranch_execz .LBB22_97
; %bb.96:                               ;   in Loop: Header=BB22_15 Depth=1
	v_mul_f32_e32 v17, v16, v16
	s_delay_alu instid0(VALU_DEP_1) | instskip(NEXT) | instid1(VALU_DEP_1)
	v_fmaak_f32 v18, s35, v17, 0x3ca908c9
	v_fmaak_f32 v18, v17, v18, 0xbd5c1c4e
	s_delay_alu instid0(VALU_DEP_1) | instskip(NEXT) | instid1(VALU_DEP_1)
	v_fmaak_f32 v18, v17, v18, 0x3e088382
	v_fmaak_f32 v18, v17, v18, 0xbeaaaa99
	s_delay_alu instid0(VALU_DEP_1) | instskip(NEXT) | instid1(VALU_DEP_1)
	v_mul_f32_e64 v18, |v16|, v18
	v_fma_f32 v17, v17, v18, |v16|
.LBB22_97:                              ;   in Loop: Header=BB22_15 Depth=1
	s_or_b32 exec_lo, exec_lo, s24
	s_delay_alu instid0(VALU_DEP_1) | instskip(SKIP_1) | instid1(VALU_DEP_1)
	v_bfi_b32 v16, 0x7fffffff, v17, v16
	s_and_not1_b32 vcc_lo, exec_lo, s31
	v_mul_f32_e32 v72, s27, v16
	s_cbranch_vccnz .LBB22_99
; %bb.98:                               ;   in Loop: Header=BB22_15 Depth=1
	global_load_u16 v16, v[70:71], off offset:12
	s_wait_loadcnt 0x0
	v_fma_mix_f32 v72, v81, v16, v72 op_sel_hi:[0,1,0]
.LBB22_99:                              ;   in Loop: Header=BB22_15 Depth=1
	v_add_nc_u64_e32 v[68:69], v[68:69], v[44:45]
	v_mov_b32_e32 v104, 0
	global_load_b128 v[16:19], v[68:69], off
	s_wait_loadcnt 0x0
	;;#ASMSTART
	v_dot2_f32_f16 v104, v16, v113, v104
	;;#ASMEND
	;;#ASMSTART
	v_dot2_f32_f16 v104, v17, v114, v104
	;;#ASMEND
	;; [unrolled: 3-line block ×4, first 2 shown]
	global_load_b128 v[122:125], v[68:69], off offset:128
	s_wait_loadcnt 0x0
	;;#ASMSTART
	v_dot2_f32_f16 v104, v122, v117, v104
	;;#ASMEND
	;;#ASMSTART
	v_dot2_f32_f16 v104, v123, v118, v104
	;;#ASMEND
	;; [unrolled: 3-line block ×4, first 2 shown]
	ds_bpermute_b32 v73, v93, v104
	s_wait_dscnt 0x0
	v_add_f32_e32 v73, v104, v73
	ds_bpermute_b32 v104, v94, v73
	s_wait_dscnt 0x0
	v_add_f32_e32 v73, v73, v104
	ds_bpermute_b32 v104, v95, v73
	s_wait_dscnt 0x0
	v_add_f32_e32 v73, v73, v104
                                        ; implicit-def: $vgpr104
	s_delay_alu instid0(VALU_DEP_1) | instskip(SKIP_1) | instid1(SALU_CYCLE_1)
	v_cmp_ngt_f32_e64 s24, 0x3f200000, |v73|
	s_and_saveexec_b32 s40, s24
	s_xor_b32 s24, exec_lo, s40
	s_cbranch_execz .LBB22_101
; %bb.100:                              ;   in Loop: Header=BB22_15 Depth=1
	v_add_f32_e64 v104, |v73|, |v73|
	s_delay_alu instid0(VALU_DEP_1) | instskip(SKIP_1) | instid1(VALU_DEP_2)
	v_mul_f32_e32 v121, 0x3fb8aa3b, v104
	v_cmp_ngt_f32_e32 vcc_lo, 0xc2ce8ed0, v104
	v_rndne_f32_e32 v122, v121
	v_fma_f32 v123, 0x3fb8aa3b, v104, -v121
	s_delay_alu instid0(VALU_DEP_2) | instskip(NEXT) | instid1(VALU_DEP_2)
	v_sub_f32_e32 v121, v121, v122
	v_fmac_f32_e32 v123, 0x32a5705f, v104
	v_cvt_i32_f32_e32 v122, v122
	s_delay_alu instid0(VALU_DEP_2) | instskip(NEXT) | instid1(VALU_DEP_1)
	v_add_f32_e32 v121, v121, v123
	v_exp_f32_e32 v121, v121
	v_nop
	s_delay_alu instid0(TRANS32_DEP_1) | instskip(NEXT) | instid1(VALU_DEP_1)
	v_ldexp_f32 v121, v121, v122
	v_cndmask_b32_e32 v121, 0, v121, vcc_lo
	v_cmp_nlt_f32_e32 vcc_lo, 0x42b17218, v104
	s_delay_alu instid0(VALU_DEP_2) | instskip(NEXT) | instid1(VALU_DEP_1)
	v_cndmask_b32_e32 v104, 0x7f800000, v121, vcc_lo
	v_add_f32_e32 v104, 1.0, v104
	s_delay_alu instid0(VALU_DEP_1) | instskip(SKIP_1) | instid1(TRANS32_DEP_1)
	v_rcp_f32_e32 v104, v104
	v_nop
	v_fma_f32 v104, v104, -2.0, 1.0
.LBB22_101:                             ;   in Loop: Header=BB22_15 Depth=1
	s_and_not1_saveexec_b32 s24, s24
	s_cbranch_execz .LBB22_103
; %bb.102:                              ;   in Loop: Header=BB22_15 Depth=1
	v_mul_f32_e32 v104, v73, v73
	s_delay_alu instid0(VALU_DEP_1) | instskip(NEXT) | instid1(VALU_DEP_1)
	v_fmaak_f32 v121, s35, v104, 0x3ca908c9
	v_fmaak_f32 v121, v104, v121, 0xbd5c1c4e
	s_delay_alu instid0(VALU_DEP_1) | instskip(NEXT) | instid1(VALU_DEP_1)
	v_fmaak_f32 v121, v104, v121, 0x3e088382
	v_fmaak_f32 v121, v104, v121, 0xbeaaaa99
	s_delay_alu instid0(VALU_DEP_1) | instskip(NEXT) | instid1(VALU_DEP_1)
	v_mul_f32_e64 v121, |v73|, v121
	v_fma_f32 v104, v104, v121, |v73|
.LBB22_103:                             ;   in Loop: Header=BB22_15 Depth=1
	s_or_b32 exec_lo, exec_lo, s24
	s_delay_alu instid0(VALU_DEP_1) | instskip(SKIP_1) | instid1(VALU_DEP_1)
	v_bfi_b32 v73, 0x7fffffff, v104, v73
	s_and_not1_b32 vcc_lo, exec_lo, s23
	v_mul_f32_e32 v73, s27, v73
	s_cbranch_vccnz .LBB22_105
; %bb.104:                              ;   in Loop: Header=BB22_15 Depth=1
	global_load_u16 v104, v24, s[20:21] offset:14 scale_offset
	s_wait_loadcnt 0x0
	v_fma_mix_f32 v73, v81, v104, v73 op_sel_hi:[0,1,0]
.LBB22_105:                             ;   in Loop: Header=BB22_15 Depth=1
	v_mov_b32_e32 v104, 0
	;;#ASMSTART
	v_dot2_f32_f16 v104, v16, v105, v104
	;;#ASMEND
	;;#ASMSTART
	v_dot2_f32_f16 v104, v17, v106, v104
	;;#ASMEND
	;; [unrolled: 3-line block ×4, first 2 shown]
	global_load_b128 v[16:19], v[68:69], off offset:128
	s_wait_loadcnt 0x0
	;;#ASMSTART
	v_dot2_f32_f16 v104, v16, v109, v104
	;;#ASMEND
	;;#ASMSTART
	v_dot2_f32_f16 v104, v17, v110, v104
	;;#ASMEND
	;; [unrolled: 3-line block ×4, first 2 shown]
	ds_bpermute_b32 v16, v93, v104
	s_wait_dscnt 0x0
	v_add_f32_e32 v16, v104, v16
	ds_bpermute_b32 v17, v94, v16
	s_wait_dscnt 0x0
	v_add_f32_e32 v16, v16, v17
	;; [unrolled: 3-line block ×3, first 2 shown]
                                        ; implicit-def: $vgpr17
	s_delay_alu instid0(VALU_DEP_1) | instskip(SKIP_1) | instid1(SALU_CYCLE_1)
	v_cmp_ngt_f32_e64 s24, 0x3f200000, |v16|
	s_and_saveexec_b32 s40, s24
	s_xor_b32 s24, exec_lo, s40
	s_cbranch_execz .LBB22_107
; %bb.106:                              ;   in Loop: Header=BB22_15 Depth=1
	v_add_f32_e64 v17, |v16|, |v16|
	s_delay_alu instid0(VALU_DEP_1) | instskip(SKIP_1) | instid1(VALU_DEP_2)
	v_mul_f32_e32 v18, 0x3fb8aa3b, v17
	v_cmp_ngt_f32_e32 vcc_lo, 0xc2ce8ed0, v17
	v_rndne_f32_e32 v19, v18
	v_fma_f32 v68, 0x3fb8aa3b, v17, -v18
	s_delay_alu instid0(VALU_DEP_2) | instskip(NEXT) | instid1(VALU_DEP_2)
	v_sub_f32_e32 v18, v18, v19
	v_fmac_f32_e32 v68, 0x32a5705f, v17
	v_cvt_i32_f32_e32 v19, v19
	s_delay_alu instid0(VALU_DEP_2) | instskip(NEXT) | instid1(VALU_DEP_1)
	v_add_f32_e32 v18, v18, v68
	v_exp_f32_e32 v18, v18
	v_nop
	s_delay_alu instid0(TRANS32_DEP_1) | instskip(NEXT) | instid1(VALU_DEP_1)
	v_ldexp_f32 v18, v18, v19
	v_cndmask_b32_e32 v18, 0, v18, vcc_lo
	v_cmp_nlt_f32_e32 vcc_lo, 0x42b17218, v17
	s_delay_alu instid0(VALU_DEP_2) | instskip(NEXT) | instid1(VALU_DEP_1)
	v_cndmask_b32_e32 v17, 0x7f800000, v18, vcc_lo
	v_add_f32_e32 v17, 1.0, v17
	s_delay_alu instid0(VALU_DEP_1) | instskip(SKIP_1) | instid1(TRANS32_DEP_1)
	v_rcp_f32_e32 v17, v17
	v_nop
	v_fma_f32 v17, v17, -2.0, 1.0
.LBB22_107:                             ;   in Loop: Header=BB22_15 Depth=1
	s_and_not1_saveexec_b32 s24, s24
	s_cbranch_execz .LBB22_109
; %bb.108:                              ;   in Loop: Header=BB22_15 Depth=1
	v_mul_f32_e32 v17, v16, v16
	s_delay_alu instid0(VALU_DEP_1) | instskip(NEXT) | instid1(VALU_DEP_1)
	v_fmaak_f32 v18, s35, v17, 0x3ca908c9
	v_fmaak_f32 v18, v17, v18, 0xbd5c1c4e
	s_delay_alu instid0(VALU_DEP_1) | instskip(NEXT) | instid1(VALU_DEP_1)
	v_fmaak_f32 v18, v17, v18, 0x3e088382
	v_fmaak_f32 v18, v17, v18, 0xbeaaaa99
	s_delay_alu instid0(VALU_DEP_1) | instskip(NEXT) | instid1(VALU_DEP_1)
	v_mul_f32_e64 v18, |v16|, v18
	v_fma_f32 v17, v17, v18, |v16|
.LBB22_109:                             ;   in Loop: Header=BB22_15 Depth=1
	s_or_b32 exec_lo, exec_lo, s24
	s_delay_alu instid0(VALU_DEP_1) | instskip(SKIP_1) | instid1(VALU_DEP_1)
	v_bfi_b32 v16, 0x7fffffff, v17, v16
	s_and_not1_b32 vcc_lo, exec_lo, s31
	v_mul_f32_e32 v18, s27, v16
	s_cbranch_vccnz .LBB22_111
; %bb.110:                              ;   in Loop: Header=BB22_15 Depth=1
	global_load_u16 v16, v[70:71], off offset:14
	s_wait_loadcnt 0x0
	v_fma_mix_f32 v18, v81, v16, v18 op_sel_hi:[0,1,0]
.LBB22_111:                             ;   in Loop: Header=BB22_15 Depth=1
	v_add_nc_u64_e32 v[16:17], s[36:37], v[46:47]
	v_add_nc_u64_e32 v[94:95], s[36:37], v[48:49]
	v_dual_add_f32 v19, 0x40051340, v88 :: v_dual_add_f32 v104, 0x40051340, v99
	v_add_f32_e32 v93, 0x40051340, v90
	v_xor_b32_e32 v183, 8, v80
	v_dual_add_f32 v184, 0x40051340, v89 :: v_dual_add_f32 v185, 0x40051340, v91
	v_add_nc_u64_e32 v[16:17], v[16:17], v[30:31]
	v_dual_add_f32 v121, 0x40051340, v101 :: v_dual_add_f32 v186, 0x40051340, v96
	s_delay_alu instid0(VALU_DEP_4)
	v_cmp_gt_i32_e32 vcc_lo, 32, v183
	v_dual_cndmask_b32 v66, v66, v88, s0 :: v_dual_cndmask_b32 v67, v67, v89, s0
	s_load_b32 s24, s[10:11], 0x4
	s_clause 0x1
	global_load_b128 v[68:71], v[16:17], off
	global_load_b128 v[122:125], v[16:17], off offset:128
	s_wait_xcnt 0x0
	v_add_nc_u64_e32 v[16:17], v[94:95], v[30:31]
	v_add_nc_u64_e32 v[94:95], s[36:37], v[50:51]
	s_mov_b32 s41, s25
	v_add_f32_e32 v182, 0x40051340, v103
	v_dual_cndmask_b32 v66, v66, v90, s1 :: v_dual_cndmask_b32 v67, v67, v91, s1
	s_clause 0x1
	global_load_b128 v[126:129], v[16:17], off
	global_load_b128 v[130:133], v[16:17], off offset:128
	s_wait_xcnt 0x0
	v_add_nc_u64_e32 v[16:17], v[94:95], v[30:31]
	v_add_nc_u64_e32 v[94:95], s[36:37], v[52:53]
	v_cndmask_b32_e64 v66, v66, v92, s4
	v_cndmask_b32_e64 v67, v67, v96, s4
	s_clause 0x1
	global_load_b128 v[134:137], v[16:17], off
	global_load_b128 v[138:141], v[16:17], off offset:128
	s_wait_xcnt 0x0
	v_add_nc_u64_e32 v[16:17], v[94:95], v[30:31]
	v_add_nc_u64_e32 v[94:95], s[36:37], v[54:55]
	v_dual_cndmask_b32 v66, v66, v97, s5 :: v_dual_cndmask_b32 v67, v67, v98, s5
	s_wait_kmcnt 0x0
	s_lshl_b32 s40, s24, 7
	s_delay_alu instid0(SALU_CYCLE_1)
	s_mul_i32 s24, s40, s34
	s_clause 0x1
	global_load_b128 v[142:145], v[16:17], off
	global_load_b128 v[146:149], v[16:17], off offset:128
	s_wait_xcnt 0x0
	v_add_nc_u64_e32 v[16:17], v[94:95], v[30:31]
	v_add_nc_u64_e32 v[94:95], s[36:37], v[56:57]
	v_dual_cndmask_b32 v66, v66, v99, s6 :: v_dual_cndmask_b32 v67, v67, v100, s6
	s_add_co_i32 s45, s40, s45
	s_lshl_b64 s[46:47], s[40:41], 1
	s_add_nc_u64 s[38:39], s[38:39], s[24:25]
	s_clause 0x1
	global_load_b128 v[150:153], v[16:17], off
	global_load_b128 v[154:157], v[16:17], off offset:128
	s_wait_xcnt 0x0
	v_add_nc_u64_e32 v[16:17], v[94:95], v[30:31]
	v_add_nc_u64_e32 v[94:95], s[36:37], v[58:59]
	v_dual_cndmask_b32 v66, v66, v101, s7 :: v_dual_cndmask_b32 v67, v67, v102, s7
	s_mul_i32 s24, s40, s22
	s_add_nc_u64 s[20:21], s[20:21], s[46:47]
	s_cmp_ge_i32 s45, s44
	s_clause 0x1
	global_load_b128 v[158:161], v[16:17], off
	global_load_b128 v[162:165], v[16:17], off offset:128
	s_wait_xcnt 0x0
	v_add_nc_u64_e32 v[16:17], v[94:95], v[30:31]
	v_add_nc_u64_e32 v[94:95], s[36:37], v[60:61]
	v_dual_cndmask_b32 v66, v66, v103, s8 :: v_dual_cndmask_b32 v67, v67, v72, s8
	s_add_nc_u64 s[36:37], s[36:37], s[24:25]
	s_clause 0x1
	global_load_b128 v[166:169], v[16:17], off
	global_load_b128 v[170:173], v[16:17], off offset:128
	s_wait_xcnt 0x0
	v_add_nc_u64_e32 v[16:17], v[94:95], v[30:31]
	v_dual_add_f32 v94, 0x40051340, v92 :: v_dual_add_f32 v95, 0x40051340, v97
	ds_load_b32 v92, v76
	s_clause 0x1
	global_load_b128 v[174:177], v[16:17], off
	global_load_b128 v[178:181], v[16:17], off offset:128
	s_wait_xcnt 0x0
	v_max3_num_f32 v16, v8, v19, v93
	v_add_f32_e32 v17, 0x40051340, v98
	v_max3_num_f32 v19, v87, v184, v185
	v_dual_add_f32 v93, 0x40051340, v73 :: v_dual_add_f32 v184, 0x40051340, v100
	s_delay_alu instid0(VALU_DEP_4) | instskip(SKIP_1) | instid1(VALU_DEP_4)
	v_max3_num_f32 v16, v16, v94, v95
	v_add_f32_e32 v94, 0x40051340, v102
	v_max3_num_f32 v17, v19, v186, v17
	v_cndmask_b32_e32 v19, v80, v183, vcc_lo
	s_delay_alu instid0(VALU_DEP_4) | instskip(SKIP_1) | instid1(VALU_DEP_4)
	v_max3_num_f32 v16, v16, v104, v121
	v_add_f32_e32 v104, 0x40051340, v18
	v_max3_num_f32 v17, v17, v184, v94
	s_delay_alu instid0(VALU_DEP_4) | instskip(NEXT) | instid1(VALU_DEP_4)
	v_dual_lshlrev_b32 v19, 2, v19 :: v_dual_cndmask_b32 v18, v67, v18, s9
	v_max3_num_f32 v16, v16, v182, v93
	ds_bpermute_b32 v93, v19, v16
	s_wait_dscnt 0x0
	v_dual_max_num_f32 v93, v93, v93 :: v_dual_bitop2_b32 v94, 16, v80 bitop3:0x14
	s_delay_alu instid0(VALU_DEP_1) | instskip(NEXT) | instid1(VALU_DEP_2)
	v_cmp_gt_i32_e32 vcc_lo, 32, v94
	v_dual_add_f32 v95, 0x40051340, v72 :: v_dual_max_num_f32 v16, v16, v93
	v_cndmask_b32_e32 v88, v80, v94, vcc_lo
	s_delay_alu instid0(VALU_DEP_2) | instskip(NEXT) | instid1(VALU_DEP_2)
	v_max3_num_f32 v17, v17, v95, v104
	v_lshlrev_b32_e32 v88, 2, v88
	ds_bpermute_b32 v19, v19, v17
	s_wait_dscnt 0x0
	v_max_num_f32_e32 v19, v19, v19
	s_delay_alu instid0(VALU_DEP_1) | instskip(SKIP_4) | instid1(VALU_DEP_1)
	v_max_num_f32_e32 v17, v17, v19
	ds_bpermute_b32 v19, v88, v16
	ds_bpermute_b32 v88, v88, v17
	s_wait_dscnt 0x0
	v_dual_max_num_f32 v19, v19, v19 :: v_dual_max_num_f32 v88, v88, v88
	v_dual_max_num_f32 v16, v16, v19 :: v_dual_cndmask_b32 v19, v66, v73, s9
	s_delay_alu instid0(VALU_DEP_2) | instskip(NEXT) | instid1(VALU_DEP_2)
	v_max_num_f32_e32 v17, v17, v88
	v_dual_sub_f32 v8, v8, v16 :: v_dual_sub_f32 v19, v19, v16
	s_delay_alu instid0(VALU_DEP_2) | instskip(NEXT) | instid1(VALU_DEP_2)
	v_dual_sub_f32 v72, v87, v17 :: v_dual_sub_f32 v67, v18, v17
	v_mul_f32_e32 v18, 0x3fb8aa3b, v8
	s_delay_alu instid0(VALU_DEP_3) | instskip(SKIP_1) | instid1(VALU_DEP_4)
	v_mul_f32_e32 v66, 0x3fb8aa3b, v19
	v_cmp_ngt_f32_e32 vcc_lo, 0xc2ce8ed0, v8
	v_mul_f32_e32 v73, 0x3fb8aa3b, v72
	v_mul_f32_e32 v87, 0x3fb8aa3b, v67
	v_fma_f32 v88, 0x3fb8aa3b, v8, -v18
	v_rndne_f32_e32 v89, v18
	v_fma_f32 v90, 0x3fb8aa3b, v19, -v66
	v_rndne_f32_e32 v91, v66
	v_fma_f32 v93, 0x3fb8aa3b, v72, -v73
	v_fma_f32 v95, 0x3fb8aa3b, v67, -v87
	v_rndne_f32_e32 v96, v87
	v_fmac_f32_e32 v88, 0x32a5705f, v8
	s_delay_alu instid0(VALU_DEP_4) | instskip(SKIP_1) | instid1(VALU_DEP_4)
	v_dual_sub_f32 v18, v18, v89 :: v_dual_fmac_f32 v93, 0x32a5705f, v72
	v_rndne_f32_e32 v94, v73
	v_dual_fmac_f32 v90, 0x32a5705f, v19 :: v_dual_sub_f32 v87, v87, v96
	v_sub_f32_e32 v66, v66, v91
	s_delay_alu instid0(VALU_DEP_4) | instskip(NEXT) | instid1(VALU_DEP_4)
	v_dual_fmac_f32 v95, 0x32a5705f, v67 :: v_dual_add_f32 v18, v18, v88
	v_sub_f32_e32 v73, v73, v94
	v_cvt_i32_f32_e32 v89, v89
	s_delay_alu instid0(VALU_DEP_3) | instskip(NEXT) | instid1(VALU_DEP_4)
	v_dual_add_f32 v66, v66, v90 :: v_dual_add_f32 v87, v87, v95
	v_exp_f32_e32 v18, v18
	s_delay_alu instid0(VALU_DEP_3) | instskip(SKIP_1) | instid1(VALU_DEP_3)
	v_add_f32_e32 v73, v73, v93
	v_cvt_i32_f32_e32 v88, v91
	v_exp_f32_e32 v66, v66
	v_exp_f32_e32 v87, v87
	v_cvt_i32_f32_e32 v90, v96
	v_exp_f32_e32 v73, v73
	v_ldexp_f32 v18, v18, v89
	v_cvt_i32_f32_e32 v91, v94
	s_delay_alu instid0(TRANS32_DEP_3) | instskip(NEXT) | instid1(TRANS32_DEP_2)
	v_ldexp_f32 v66, v66, v88
	v_ldexp_f32 v87, v87, v90
	s_delay_alu instid0(VALU_DEP_4)
	v_cndmask_b32_e32 v18, 0, v18, vcc_lo
	v_cmp_ngt_f32_e32 vcc_lo, 0xc2ce8ed0, v19
	v_ldexp_f32 v73, v73, v91
	v_cndmask_b32_e32 v66, 0, v66, vcc_lo
	v_cmp_ngt_f32_e32 vcc_lo, 0xc2ce8ed0, v67
	v_cndmask_b32_e32 v87, 0, v87, vcc_lo
	v_cmp_ngt_f32_e32 vcc_lo, 0xc2ce8ed0, v72
	v_cndmask_b32_e32 v73, 0, v73, vcc_lo
	v_cmp_nlt_f32_e32 vcc_lo, 0x42b17218, v8
	v_cndmask_b32_e32 v18, 0x7f800000, v18, vcc_lo
	v_cmp_nlt_f32_e32 vcc_lo, 0x42b17218, v19
	s_delay_alu instid0(VALU_DEP_2) | instskip(SKIP_2) | instid1(VALU_DEP_3)
	v_cvt_f16_f32_e32 v8, v18
	v_cndmask_b32_e32 v66, 0x7f800000, v66, vcc_lo
	v_cmp_nlt_f32_e32 vcc_lo, 0x42b17218, v67
	v_and_b32_e32 v8, 0xffff, v8
	v_cndmask_b32_e32 v67, 0x7f800000, v87, vcc_lo
	v_cmp_nlt_f32_e32 vcc_lo, 0x42b17218, v72
	v_cvt_f16_f32_e32 v72, v66
	s_delay_alu instid0(VALU_DEP_4)
	v_mul_u32_u24_e32 v8, 0x10001, v8
	v_cndmask_b32_e32 v19, 0x7f800000, v73, vcc_lo
	v_cvt_f16_f32_e32 v73, v67
	ds_store_b16 v75, v72
	ds_store_b16 v75, v73 offset:256
	v_cvt_f16_f32_e32 v87, v19
	v_pk_fma_f32 v[22:23], v[22:23], v[18:19], v[66:67]
	v_pk_mul_f16 v88, v12, v8
	v_pk_mul_f16 v89, v13, v8
	;; [unrolled: 1-line block ×3, first 2 shown]
	v_and_b32_e32 v18, 0xffff, v87
	ds_load_u16 v19, v82
	ds_load_u16 v72, v82 offset:32
	ds_load_u16 v73, v82 offset:256
	;; [unrolled: 1-line block ×15, first 2 shown]
	v_pk_mul_f16 v91, v15, v8
	v_pk_mul_f16 v12, v92, v8
	v_mul_u32_u24_e32 v18, 0x10001, v18
	v_pk_mul_f16 v9, v9, v8
	v_pk_mul_f16 v10, v10, v8
	v_pk_mul_f16 v8, v11, v8
	s_delay_alu instid0(VALU_DEP_4)
	v_pk_mul_f16 v4, v4, v18
	v_pk_mul_f16 v5, v5, v18
	;; [unrolled: 1-line block ×8, first 2 shown]
	s_wait_dscnt 0xf
	v_mul_u32_u24_e32 v11, 0x10001, v19
	s_wait_dscnt 0xd
	v_mul_u32_u24_e32 v13, 0x10001, v73
	;; [unrolled: 2-line block ×4, first 2 shown]
	v_mul_u32_u24_e32 v18, 0x10001, v93
	s_wait_dscnt 0x6
	v_mul_u32_u24_e32 v19, 0x10001, v98
	v_mul_u32_u24_e32 v73, 0x10001, v94
	s_wait_dscnt 0x5
	v_mul_u32_u24_e32 v87, 0x10001, v99
	v_mul_u32_u24_e32 v72, 0x10001, v72
	;; [unrolled: 1-line block ×4, first 2 shown]
	s_wait_dscnt 0x4
	v_mul_u32_u24_e32 v94, 0x10001, v100
	s_wait_dscnt 0x3
	v_mul_u32_u24_e32 v95, 0x10001, v101
	;; [unrolled: 2-line block ×4, first 2 shown]
	v_mul_u32_u24_e32 v98, 0x10001, v103
	s_wait_loadcnt 0xf
	v_pk_fma_f16 v12, v68, v11, v12
	v_pk_fma_f16 v4, v68, v13, v4
	v_pk_fma_f16 v9, v69, v11, v9
	v_pk_fma_f16 v5, v69, v13, v5
	v_pk_fma_f16 v10, v70, v11, v10
	v_pk_fma_f16 v6, v70, v13, v6
	v_pk_fma_f16 v8, v71, v11, v8
	v_pk_fma_f16 v7, v71, v13, v7
	s_wait_loadcnt 0xe
	v_pk_fma_f16 v68, v122, v11, v88
	v_pk_fma_f16 v0, v122, v13, v0
	v_pk_fma_f16 v69, v123, v11, v89
	v_pk_fma_f16 v1, v123, v13, v1
	v_pk_fma_f16 v70, v124, v11, v90
	v_pk_fma_f16 v2, v124, v13, v2
	v_pk_fma_f16 v11, v125, v11, v91
	v_pk_fma_f16 v3, v125, v13, v3
	;; [unrolled: 9-line block ×16, first 2 shown]
	ds_store_b128 v76, v[88:91] offset:16
	ds_store_b128 v76, v[8:11]
	ds_store_b128 v76, v[4:7] offset:32
	ds_store_b128 v76, v[12:15] offset:16
	;; [unrolled: 1-line block ×3, first 2 shown]
	s_cbranch_scc1 .LBB22_114
; %bb.112:                              ;   in Loop: Header=BB22_15 Depth=1
	v_dual_mov_b32 v8, v16 :: v_dual_mov_b32 v87, v17
	s_branch .LBB22_15
.LBB22_113:
	v_mov_b32_e32 v23, 0
	v_mov_b64_e32 v[16:17], 0xfefffffffeffffff
	s_delay_alu instid0(VALU_DEP_2)
	v_mov_b32_e32 v22, v23
.LBB22_114:
	s_cmp_lg_u64 s[12:13], 0
	v_cmp_gt_u32_e32 vcc_lo, 2, v77
	s_cselect_b32 s0, -1, 0
	s_cmp_eq_u32 s26, 0
	s_cselect_b32 s1, -1, 0
	s_delay_alu instid0(SALU_CYCLE_1) | instskip(NEXT) | instid1(SALU_CYCLE_1)
	s_and_b32 s0, s1, s0
	s_and_b32 s0, s0, vcc_lo
	s_delay_alu instid0(SALU_CYCLE_1)
	s_and_saveexec_b32 s1, s0
	s_cbranch_execz .LBB22_116
; %bb.115:
	v_cmp_eq_u32_e32 vcc_lo, 1, v77
	v_mov_b32_e32 v0, s33
	v_lshl_add_u32 v10, v77, 5, v76
	v_cndmask_b32_e32 v1, v16, v17, vcc_lo
	global_load_b32 v0, v0, s[12:13] scale_offset
	v_dual_cndmask_b32 v13, v22, v23 :: v_dual_max_num_f32 v2, v1, v1
	s_wait_loadcnt 0x0
	v_max_num_f32_e32 v3, v0, v0
	s_delay_alu instid0(VALU_DEP_1) | instskip(NEXT) | instid1(VALU_DEP_1)
	v_max_num_f32_e32 v8, v3, v2
	v_dual_sub_f32 v1, v1, v8 :: v_dual_sub_f32 v9, v0, v8
	s_delay_alu instid0(VALU_DEP_1) | instskip(NEXT) | instid1(VALU_DEP_2)
	v_mul_f32_e32 v0, 0x3fb8aa3b, v1
	v_mul_f32_e32 v2, 0x3fb8aa3b, v9
	v_cmp_ngt_f32_e64 s0, 0xc2ce8ed0, v1
	s_delay_alu instid0(VALU_DEP_3) | instskip(SKIP_1) | instid1(VALU_DEP_4)
	v_fma_f32 v3, 0x3fb8aa3b, v1, -v0
	v_rndne_f32_e32 v4, v0
	v_fma_f32 v5, 0x3fb8aa3b, v9, -v2
	v_rndne_f32_e32 v6, v2
	s_delay_alu instid0(VALU_DEP_3) | instskip(NEXT) | instid1(VALU_DEP_2)
	v_dual_fmac_f32 v3, 0x32a5705f, v1 :: v_dual_sub_f32 v0, v0, v4
	v_dual_fmac_f32 v5, 0x32a5705f, v9 :: v_dual_sub_f32 v2, v2, v6
	s_delay_alu instid0(VALU_DEP_2) | instskip(SKIP_2) | instid1(VALU_DEP_3)
	v_add_f32_e32 v0, v0, v3
	v_cvt_i32_f32_e32 v3, v4
	v_cvt_i32_f32_e32 v4, v6
	v_exp_f32_e32 v0, v0
	v_nop
	s_delay_alu instid0(TRANS32_DEP_1) | instskip(NEXT) | instid1(VALU_DEP_1)
	v_ldexp_f32 v0, v0, v3
	v_dual_add_f32 v2, v2, v5 :: v_dual_cndmask_b32 v0, 0, v0, s0
	s_delay_alu instid0(VALU_DEP_1) | instskip(SKIP_1) | instid1(TRANS32_DEP_1)
	v_exp_f32_e32 v2, v2
	v_cmp_ngt_f32_e64 s0, 0xc2ce8ed0, v9
	v_ldexp_f32 v2, v2, v4
	s_delay_alu instid0(VALU_DEP_1) | instskip(SKIP_1) | instid1(VALU_DEP_1)
	v_cndmask_b32_e64 v11, 0, v2, s0
	v_cmp_nlt_f32_e64 s0, 0x42b17218, v1
	v_cndmask_b32_e64 v12, 0x7f800000, v0, s0
	v_cmp_nlt_f32_e64 s0, 0x42b17218, v9
	ds_load_b128 v[0:3], v10
	ds_load_b128 v[4:7], v10 offset:16
	v_cndmask_b32_e64 v9, 0x7f800000, v11, s0
	v_cvt_f16_f32_e32 v11, v12
	v_cmp_eq_u32_e64 s0, 0, v21
	s_delay_alu instid0(VALU_DEP_2) | instskip(NEXT) | instid1(VALU_DEP_2)
	v_and_b32_e32 v11, 0xffff, v11
	v_cndmask_b32_e64 v9, 0, v9, s0
	v_cmp_eq_u32_e64 s0, 0, v77
	v_cndmask_b32_e32 v17, v17, v8, vcc_lo
	s_delay_alu instid0(VALU_DEP_4) | instskip(NEXT) | instid1(VALU_DEP_4)
	v_mul_u32_u24_e32 v11, 0x10001, v11
	v_fmac_f32_e32 v9, v13, v12
	s_delay_alu instid0(VALU_DEP_4) | instskip(SKIP_1) | instid1(VALU_DEP_3)
	v_cndmask_b32_e64 v16, v16, v8, s0
	s_wait_dscnt 0x1
	v_pk_mul_f16 v0, v0, v11
	s_delay_alu instid0(VALU_DEP_3)
	v_dual_cndmask_b32 v23, v23, v9, vcc_lo :: v_dual_cndmask_b32 v22, v22, v9, s0
	v_pk_mul_f16 v1, v1, v11
	v_pk_mul_f16 v2, v2, v11
	;; [unrolled: 1-line block ×3, first 2 shown]
	s_wait_dscnt 0x0
	v_pk_mul_f16 v4, v4, v11
	v_pk_mul_f16 v5, v5, v11
	;; [unrolled: 1-line block ×4, first 2 shown]
	ds_store_b128 v10, v[0:3]
	ds_store_b128 v10, v[4:7] offset:16
.LBB22_116:
	s_or_b32 exec_lo, exec_lo, s1
	v_add_nc_u32_e32 v4, 0x1100, v79
	v_or_b32_e32 v10, 0x1000, v79
	s_mov_b32 s0, exec_lo
	v_cmpx_eq_u32_e32 0, v77
	s_cbranch_execz .LBB22_118
; %bb.117:
	v_dual_mov_b32 v0, 0xfeffffff :: v_dual_mov_b32 v1, 0
	ds_store_2addr_b32 v10, v0, v0 offset1:32
	ds_store_2addr_b32 v4, v1, v1 offset1:32
.LBB22_118:
	s_or_b32 exec_lo, exec_lo, s0
	v_cmp_eq_u32_e64 s0, 0, v21
	s_wait_dscnt 0x0
	s_barrier_signal -1
	s_barrier_wait -1
	s_and_saveexec_b32 s1, s0
; %bb.119:
	v_lshlrev_b32_e32 v0, 2, v77
	s_delay_alu instid0(VALU_DEP_1)
	v_add_nc_u32_e32 v0, 0x1000, v0
	ds_store_2addr_b32 v0, v16, v17 offset1:32
; %bb.120:
	s_or_b32 exec_lo, exec_lo, s1
	s_delay_alu instid0(SALU_CYCLE_1)
	s_and_not1_b32 vcc_lo, exec_lo, s43
	s_wait_dscnt 0x0
	s_barrier_signal -1
	s_barrier_wait -1
	s_cbranch_vccnz .LBB22_123
; %bb.121:
	s_add_nc_u64 s[4:5], s[2:3], 0xd0
	s_cbranch_execz .LBB22_124
; %bb.122:
	s_mov_b64 s[14:15], s[4:5]
	s_branch .LBB22_132
.LBB22_123:
                                        ; implicit-def: $sgpr4_sgpr5
.LBB22_124:
	v_xor_b32_e32 v2, 8, v80
	v_xor_b32_e32 v1, 16, v80
	ds_load_b32 v0, v10
	ds_load_b128 v[12:15], v76
	ds_load_b128 v[24:27], v76 offset:16
	s_load_b32 s2, s[2:3], 0xd4
	v_cmp_gt_i32_e32 vcc_lo, 32, v1
	v_cndmask_b32_e32 v1, v80, v1, vcc_lo
	v_cmp_gt_i32_e32 vcc_lo, 32, v2
	v_cndmask_b32_e32 v2, v80, v2, vcc_lo
	s_delay_alu instid0(VALU_DEP_1)
	v_dual_lshlrev_b32 v5, 2, v2 :: v_dual_lshlrev_b32 v9, 2, v1
	v_xor_b32_e32 v2, 4, v80
	s_wait_dscnt 0x2
	ds_bpermute_b32 v1, v9, v0
	v_max_num_f32_e32 v0, v0, v0
	v_cmp_gt_i32_e32 vcc_lo, 32, v2
	s_wait_dscnt 0x0
	v_max_num_f32_e32 v1, v1, v1
	s_delay_alu instid0(VALU_DEP_1) | instskip(SKIP_3) | instid1(VALU_DEP_1)
	v_max_num_f32_e32 v0, v0, v1
	ds_bpermute_b32 v1, v5, v0
	s_wait_dscnt 0x0
	v_dual_cndmask_b32 v2, v80, v2 :: v_dual_max_num_f32 v1, v1, v1
	v_dual_lshlrev_b32 v6, 2, v2 :: v_dual_max_num_f32 v0, v0, v1
	ds_bpermute_b32 v1, v6, v0
	s_wait_dscnt 0x0
	v_dual_max_num_f32 v1, v1, v1 :: v_dual_bitop2_b32 v2, 2, v80 bitop3:0x14
	s_delay_alu instid0(VALU_DEP_1) | instskip(NEXT) | instid1(VALU_DEP_2)
	v_cmp_gt_i32_e32 vcc_lo, 32, v2
	v_max_num_f32_e32 v0, v0, v1
	v_cndmask_b32_e32 v2, v80, v2, vcc_lo
	s_delay_alu instid0(VALU_DEP_1) | instskip(SKIP_3) | instid1(VALU_DEP_1)
	v_lshlrev_b32_e32 v7, 2, v2
	ds_bpermute_b32 v1, v7, v0
	s_wait_dscnt 0x0
	v_dual_max_num_f32 v1, v1, v1 :: v_dual_bitop2_b32 v2, 1, v80 bitop3:0x14
	v_max_num_f32_e32 v0, v0, v1
	s_delay_alu instid0(VALU_DEP_2) | instskip(SKIP_1) | instid1(VALU_DEP_1)
	v_cmp_gt_i32_e32 vcc_lo, 32, v2
	v_cndmask_b32_e32 v2, v80, v2, vcc_lo
	v_lshlrev_b32_e32 v8, 2, v2
	ds_bpermute_b32 v1, v8, v0
	s_wait_dscnt 0x0
	v_max_num_f32_e32 v1, v1, v1
	s_delay_alu instid0(VALU_DEP_1) | instskip(NEXT) | instid1(VALU_DEP_1)
	v_max_num_f32_e32 v0, v0, v1
	v_sub_f32_e32 v1, v16, v0
	s_delay_alu instid0(VALU_DEP_1) | instskip(NEXT) | instid1(VALU_DEP_1)
	v_mul_f32_e32 v2, 0x3fb8aa3b, v1
	v_fma_f32 v3, 0x3fb8aa3b, v1, -v2
	v_rndne_f32_e32 v11, v2
	s_delay_alu instid0(VALU_DEP_1) | instskip(SKIP_1) | instid1(VALU_DEP_4)
	v_sub_f32_e32 v2, v2, v11
	v_cmp_ngt_f32_e32 vcc_lo, 0xc2ce8ed0, v1
	v_fmamk_f32 v3, v1, 0x32a5705f, v3
	s_delay_alu instid0(VALU_DEP_1) | instskip(SKIP_2) | instid1(VALU_DEP_3)
	v_add_f32_e32 v2, v2, v3
	v_cvt_i32_f32_e32 v3, v11
	v_lshlrev_b32_e32 v11, 5, v21
	v_exp_f32_e32 v2, v2
	v_nop
	s_delay_alu instid0(TRANS32_DEP_1) | instskip(NEXT) | instid1(VALU_DEP_1)
	v_ldexp_f32 v2, v2, v3
	v_cndmask_b32_e32 v2, 0, v2, vcc_lo
	v_cmp_nlt_f32_e32 vcc_lo, 0x42b17218, v1
	s_delay_alu instid0(VALU_DEP_2) | instskip(NEXT) | instid1(VALU_DEP_1)
	v_cndmask_b32_e32 v1, 0x7f800000, v2, vcc_lo
	v_mul_f32_e32 v2, v22, v1
	ds_bpermute_b32 v2, v9, v2
	s_wait_dscnt 0x0
	v_fmac_f32_e32 v2, v22, v1
	ds_bpermute_b32 v3, v5, v2
	s_wait_dscnt 0x0
	v_add_f32_e32 v2, v2, v3
	v_cvt_f16_f32_e32 v1, v1
	ds_bpermute_b32 v3, v6, v2
	v_and_b32_e32 v16, 0xffff, v1
	s_wait_dscnt 0x0
	v_add_f32_e32 v2, v2, v3
	ds_bpermute_b32 v3, v7, v2
	s_wait_dscnt 0x0
	v_add_f32_e32 v1, v2, v3
	v_and_b32_e32 v3, 0xf00, v11
	v_mul_u32_u24_e32 v11, 0x10001, v16
	ds_bpermute_b32 v2, v8, v1
	v_lshl_add_u32 v3, v77, 10, v3
	v_pk_mul_f16 v28, v12, v11
	v_pk_mul_f16 v29, v13, v11
	;; [unrolled: 1-line block ×8, first 2 shown]
	v_lshl_or_b32 v12, v20, 2, v3
	v_lshl_add_u32 v11, v77, 2, 0x1100
	ds_store_b128 v76, v[28:31]
	ds_store_b128 v76, v[24:27] offset:16
	ds_store_b128 v12, v[28:31]
	ds_store_b128 v12, v[24:27] offset:128
	s_and_saveexec_b32 s1, s0
	s_cbranch_execz .LBB22_126
; %bb.125:
	s_wait_dscnt 0x4
	v_add_f32_e32 v1, v1, v2
	ds_store_b32 v11, v1
.LBB22_126:
	s_or_b32 exec_lo, exec_lo, s1
	s_wait_dscnt 0x0
	s_barrier_signal -1
	s_barrier_wait -1
	ds_load_u16 v1, v75
	ds_load_u16 v2, v75 offset:256
	ds_load_u16 v3, v75 offset:512
	;; [unrolled: 1-line block ×6, first 2 shown]
	s_wait_kmcnt 0x0
	s_cmp_eq_u32 s2, 1
	s_mul_i32 s3, s30, s28
	s_cselect_b32 s1, -1, 0
	s_add_co_i32 s3, s42, s3
	s_delay_alu instid0(SALU_CYCLE_1) | instskip(NEXT) | instid1(SALU_CYCLE_1)
	s_mul_i32 s3, s3, s29
	s_add_co_i32 s3, s3, s33
	s_delay_alu instid0(SALU_CYCLE_1) | instskip(NEXT) | instid1(SALU_CYCLE_1)
	s_mul_i32 s4, s2, s3
	s_add_co_i32 s4, s4, s26
	s_wait_dscnt 0x6
	v_cvt_f32_f16_e32 v1, v1
	s_wait_dscnt 0x5
	v_cvt_f32_f16_e32 v2, v2
	s_wait_dscnt 0x4
	v_cvt_f32_f16_e32 v3, v3
	s_wait_dscnt 0x2
	v_cvt_f32_f16_e32 v14, v14
	v_add_f32_e32 v1, 0, v1
	s_wait_dscnt 0x1
	v_cvt_f32_f16_e32 v15, v15
	s_wait_dscnt 0x0
	v_cvt_f32_f16_e32 v16, v16
	v_add_f32_e32 v1, v1, v2
	v_cvt_f32_f16_e32 v2, v13
	s_delay_alu instid0(VALU_DEP_2)
	v_add_f32_e32 v1, v1, v3
	ds_load_u16 v13, v75 offset:1792
	ds_load_b32 v3, v4
	v_add_f32_e32 v1, v1, v2
	ds_load_u16 v2, v75 offset:2048
	v_add_f32_e32 v1, v1, v14
	ds_load_u16 v14, v75 offset:2304
	ds_load_u16 v18, v75 offset:2560
	;; [unrolled: 1-line block ×6, first 2 shown]
	v_add_f32_e32 v1, v1, v15
	s_wait_dscnt 0x8
	v_cvt_f32_f16_e32 v13, v13
	s_delay_alu instid0(VALU_DEP_2)
	v_add_f32_e32 v1, v1, v16
	s_wait_dscnt 0x7
	ds_bpermute_b32 v15, v9, v3
	s_wait_dscnt 0x7
	v_cvt_f32_f16_e32 v2, v2
	v_add_f32_e32 v1, v1, v13
	s_wait_dscnt 0x6
	v_cvt_f32_f16_e32 v13, v14
	s_delay_alu instid0(VALU_DEP_2)
	v_add_f32_e32 v1, v1, v2
	s_wait_dscnt 0x5
	v_cvt_f32_f16_e32 v2, v18
	s_wait_dscnt 0x4
	v_cvt_f32_f16_e32 v14, v19
	v_add_f32_e32 v1, v1, v13
	s_delay_alu instid0(VALU_DEP_1)
	v_add_f32_e32 v2, v1, v2
	ds_load_u16 v1, v75 offset:3840
	s_wait_dscnt 0x1
	v_pk_add_f32 v[2:3], v[2:3], v[14:15]
	v_cvt_f32_f16_e32 v14, v20
	ds_bpermute_b32 v15, v5, v3
	s_wait_dscnt 0x0
	v_pk_add_f32 v[2:3], v[2:3], v[14:15]
	v_cvt_f32_f16_e32 v14, v22
	ds_bpermute_b32 v15, v6, v3
	;; [unrolled: 4-line block ×4, first 2 shown]
	s_wait_dscnt 0x0
	v_pk_add_f32 v[2:3], v[2:3], v[14:15]
	s_delay_alu instid0(VALU_DEP_1) | instskip(SKIP_1) | instid1(VALU_DEP_2)
	v_div_scale_f32 v1, null, v3, v3, v2
	v_div_scale_f32 v15, vcc_lo, v2, v3, v2
	v_rcp_f32_e32 v13, v1
	v_nop
	s_delay_alu instid0(TRANS32_DEP_1) | instskip(NEXT) | instid1(VALU_DEP_1)
	v_fma_f32 v14, -v1, v13, 1.0
	v_fmac_f32_e32 v13, v14, v13
	s_delay_alu instid0(VALU_DEP_1) | instskip(NEXT) | instid1(VALU_DEP_1)
	v_mul_f32_e32 v14, v15, v13
	v_fma_f32 v16, -v1, v14, v15
	s_delay_alu instid0(VALU_DEP_1) | instskip(NEXT) | instid1(VALU_DEP_1)
	v_fmac_f32_e32 v14, v16, v13
	v_fma_f32 v1, -v1, v14, v15
	s_delay_alu instid0(VALU_DEP_1) | instskip(SKIP_2) | instid1(VALU_DEP_3)
	v_div_fmas_f32 v1, v1, v13, v14
	v_cmp_ne_u32_e32 vcc_lo, 1, v78
	v_lshl_or_b32 v13, s4, 7, v74
	v_div_fixup_f32 v1, v1, v3, v2
	s_and_b32 vcc_lo, exec_lo, vcc_lo
	s_delay_alu instid0(VALU_DEP_1)
	v_cndmask_b32_e64 v2, v2, v1, s1
	global_store_b32 v13, v2, s[16:17] scale_offset
	s_wait_storecnt 0x0
	s_barrier_signal -1
	s_barrier_wait -1
	s_cbranch_vccnz .LBB22_130
; %bb.127:
	ds_load_b32 v1, v10 offset:128
	s_wait_dscnt 0x0
	s_wait_xcnt 0x0
	ds_bpermute_b32 v2, v9, v1
	s_wait_dscnt 0x0
	v_dual_max_num_f32 v1, v1, v1 :: v_dual_max_num_f32 v2, v2, v2
	s_delay_alu instid0(VALU_DEP_1) | instskip(SKIP_3) | instid1(VALU_DEP_1)
	v_max_num_f32_e32 v1, v1, v2
	ds_bpermute_b32 v2, v5, v1
	s_wait_dscnt 0x0
	v_max_num_f32_e32 v2, v2, v2
	v_max_num_f32_e32 v1, v1, v2
	ds_bpermute_b32 v2, v6, v1
	s_wait_dscnt 0x0
	v_max_num_f32_e32 v2, v2, v2
	s_delay_alu instid0(VALU_DEP_1) | instskip(SKIP_3) | instid1(VALU_DEP_1)
	v_max_num_f32_e32 v1, v1, v2
	ds_bpermute_b32 v2, v7, v1
	s_wait_dscnt 0x0
	v_max_num_f32_e32 v2, v2, v2
	v_max_num_f32_e32 v1, v1, v2
	ds_bpermute_b32 v2, v8, v1
	s_wait_dscnt 0x0
	v_max_num_f32_e32 v2, v2, v2
	s_delay_alu instid0(VALU_DEP_1) | instskip(NEXT) | instid1(VALU_DEP_1)
	v_max_num_f32_e32 v1, v1, v2
	v_sub_f32_e32 v2, v17, v1
	s_delay_alu instid0(VALU_DEP_1) | instskip(NEXT) | instid1(VALU_DEP_1)
	v_mul_f32_e32 v10, 0x3fb8aa3b, v2
	v_fma_f32 v13, 0x3fb8aa3b, v2, -v10
	v_rndne_f32_e32 v14, v10
	s_delay_alu instid0(VALU_DEP_1) | instskip(SKIP_1) | instid1(VALU_DEP_4)
	v_sub_f32_e32 v10, v10, v14
	v_cmp_ngt_f32_e32 vcc_lo, 0xc2ce8ed0, v2
	v_fmamk_f32 v13, v2, 0x32a5705f, v13
	s_delay_alu instid0(VALU_DEP_1) | instskip(SKIP_4) | instid1(TRANS32_DEP_1)
	v_add_f32_e32 v10, v10, v13
	v_cvt_i32_f32_e32 v13, v14
	ds_load_b128 v[14:17], v76 offset:32
	v_exp_f32_e32 v10, v10
	v_nop
	v_ldexp_f32 v10, v10, v13
	s_delay_alu instid0(VALU_DEP_1) | instskip(SKIP_1) | instid1(VALU_DEP_2)
	v_cndmask_b32_e32 v10, 0, v10, vcc_lo
	v_cmp_nlt_f32_e32 vcc_lo, 0x42b17218, v2
	v_cndmask_b32_e32 v2, 0x7f800000, v10, vcc_lo
	s_delay_alu instid0(VALU_DEP_1)
	v_mul_f32_e32 v10, v23, v2
	ds_bpermute_b32 v10, v9, v10
	s_wait_dscnt 0x0
	v_fmac_f32_e32 v10, v23, v2
	v_cvt_f16_f32_e32 v2, v2
	ds_load_b128 v[22:25], v76 offset:48
	ds_bpermute_b32 v13, v5, v10
	v_and_b32_e32 v18, 0xffff, v2
	s_wait_dscnt 0x0
	v_add_f32_e32 v10, v10, v13
	ds_bpermute_b32 v13, v6, v10
	s_wait_dscnt 0x0
	v_add_f32_e32 v10, v10, v13
	ds_bpermute_b32 v13, v7, v10
	s_wait_dscnt 0x0
	v_add_f32_e32 v2, v10, v13
	v_mul_u32_u24_e32 v13, 0x10001, v18
	ds_bpermute_b32 v10, v8, v2
	v_pk_mul_f16 v14, v14, v13
	v_pk_mul_f16 v15, v15, v13
	;; [unrolled: 1-line block ×8, first 2 shown]
	v_or_b32_e32 v13, 0x80, v12
	ds_store_b128 v76, v[14:17] offset:32
	ds_store_b128 v76, v[22:25] offset:48
	ds_store_b128 v12, v[14:17]
	ds_store_b128 v13, v[22:25]
	s_and_saveexec_b32 s4, s0
	s_cbranch_execz .LBB22_129
; %bb.128:
	s_wait_dscnt 0x4
	v_add_f32_e32 v2, v2, v10
	ds_store_b32 v11, v2 offset:128
.LBB22_129:
	s_or_b32 exec_lo, exec_lo, s4
	s_wait_dscnt 0x0
	s_barrier_signal -1
	s_barrier_wait -1
	ds_load_u16 v2, v75
	ds_load_u16 v10, v75 offset:256
	ds_load_u16 v11, v75 offset:512
	;; [unrolled: 1-line block ×6, first 2 shown]
	s_add_co_i32 s3, s3, s29
	s_delay_alu instid0(SALU_CYCLE_1) | instskip(NEXT) | instid1(SALU_CYCLE_1)
	s_mul_i32 s0, s2, s3
	s_add_co_i32 s0, s0, s26
	s_wait_dscnt 0x6
	v_cvt_f32_f16_e32 v2, v2
	s_wait_dscnt 0x5
	v_cvt_f32_f16_e32 v10, v10
	s_wait_dscnt 0x4
	v_cvt_f32_f16_e32 v11, v11
	v_add_f32_e32 v2, 0, v2
	s_delay_alu instid0(VALU_DEP_1) | instskip(SKIP_2) | instid1(VALU_DEP_2)
	v_add_f32_e32 v2, v2, v10
	s_wait_dscnt 0x3
	v_cvt_f32_f16_e32 v10, v12
	v_add_f32_e32 v2, v2, v11
	ds_load_u16 v12, v75 offset:1792
	ds_load_b32 v11, v4 offset:128
	s_wait_dscnt 0x4
	v_cvt_f32_f16_e32 v4, v13
	s_wait_dscnt 0x3
	v_cvt_f32_f16_e32 v13, v14
	;; [unrolled: 2-line block ×3, first 2 shown]
	v_add_f32_e32 v2, v2, v10
	ds_load_u16 v10, v75 offset:2048
	v_add_f32_e32 v2, v2, v4
	ds_load_u16 v4, v75 offset:2304
	ds_load_u16 v15, v75 offset:2560
	;; [unrolled: 1-line block ×6, first 2 shown]
	v_add_f32_e32 v2, v2, v13
	s_wait_dscnt 0x8
	v_cvt_f32_f16_e32 v12, v12
	s_delay_alu instid0(VALU_DEP_2)
	v_add_f32_e32 v2, v2, v14
	s_wait_dscnt 0x7
	ds_bpermute_b32 v13, v9, v11
	s_wait_dscnt 0x7
	v_cvt_f32_f16_e32 v9, v10
	v_add_f32_e32 v2, v2, v12
	s_wait_dscnt 0x4
	v_cvt_f32_f16_e32 v12, v16
	v_cvt_f32_f16_e32 v4, v4
	s_delay_alu instid0(VALU_DEP_3) | instskip(SKIP_1) | instid1(VALU_DEP_2)
	v_add_f32_e32 v2, v2, v9
	v_cvt_f32_f16_e32 v9, v15
	v_add_f32_e32 v2, v2, v4
	s_wait_dscnt 0x3
	v_cvt_f32_f16_e32 v4, v17
	s_delay_alu instid0(VALU_DEP_2)
	v_add_f32_e32 v10, v2, v9
	ds_load_u16 v2, v75 offset:3840
	s_wait_dscnt 0x1
	v_pk_add_f32 v[10:11], v[10:11], v[12:13]
	ds_bpermute_b32 v5, v5, v11
	s_wait_dscnt 0x0
	v_pk_add_f32 v[4:5], v[10:11], v[4:5]
	v_cvt_f32_f16_e32 v10, v18
	ds_bpermute_b32 v11, v6, v5
	v_cvt_f32_f16_e32 v6, v19
	s_wait_dscnt 0x0
	v_pk_add_f32 v[4:5], v[4:5], v[10:11]
	ds_bpermute_b32 v7, v7, v5
	s_wait_dscnt 0x0
	v_pk_add_f32 v[4:5], v[4:5], v[6:7]
	v_cvt_f32_f16_e32 v6, v2
	ds_bpermute_b32 v7, v8, v5
	s_wait_dscnt 0x0
	v_pk_add_f32 v[22:23], v[4:5], v[6:7]
	s_delay_alu instid0(VALU_DEP_1) | instskip(NEXT) | instid1(VALU_DEP_1)
	v_div_scale_f32 v2, null, v23, v23, v22
	v_rcp_f32_e32 v4, v2
	v_nop
	s_delay_alu instid0(TRANS32_DEP_1) | instskip(NEXT) | instid1(VALU_DEP_1)
	v_fma_f32 v5, -v2, v4, 1.0
	v_fmac_f32_e32 v4, v5, v4
	v_div_scale_f32 v5, vcc_lo, v22, v23, v22
	s_delay_alu instid0(VALU_DEP_1) | instskip(NEXT) | instid1(VALU_DEP_1)
	v_mul_f32_e32 v6, v5, v4
	v_fma_f32 v7, -v2, v6, v5
	s_delay_alu instid0(VALU_DEP_1) | instskip(NEXT) | instid1(VALU_DEP_1)
	v_fmac_f32_e32 v6, v7, v4
	v_fma_f32 v2, -v2, v6, v5
	s_delay_alu instid0(VALU_DEP_1) | instskip(SKIP_1) | instid1(VALU_DEP_2)
	v_div_fmas_f32 v2, v2, v4, v6
	v_lshl_or_b32 v4, s0, 7, v74
	v_div_fixup_f32 v2, v2, v23, v22
	s_delay_alu instid0(VALU_DEP_1)
	v_cndmask_b32_e64 v2, v22, v2, s1
	global_store_b32 v4, v2, s[16:17] scale_offset
	s_branch .LBB22_131
.LBB22_130:
	v_mov_b32_e32 v1, v17
.LBB22_131:
	s_delay_alu instid0(VALU_DEP_1)
	v_mov_b64_e32 v[16:17], v[0:1]
	v_mov_b32_e32 v22, v3
.LBB22_132:
	s_load_b32 s1, s[14:15], 0x4
	v_or_b32_e32 v0, s42, v21
	v_cmp_gt_u32_e32 vcc_lo, 2, v74
	s_delay_alu instid0(VALU_DEP_2) | instskip(SKIP_3) | instid1(SALU_CYCLE_1)
	v_cmp_gt_i32_e64 s0, s28, v0
	s_wait_kmcnt 0x0
	s_cmp_lg_u32 s1, 1
	s_cselect_b32 s2, -1, 0
	s_and_b32 s2, s2, vcc_lo
	s_delay_alu instid0(SALU_CYCLE_1) | instskip(NEXT) | instid1(SALU_CYCLE_1)
	s_and_b32 s0, s2, s0
	s_and_saveexec_b32 s2, s0
	s_cbranch_execz .LBB22_134
; %bb.133:
	v_mad_u32 v0, s30, s28, v0
	v_cmp_eq_u32_e32 vcc_lo, 1, v74
	v_cndmask_b32_e32 v1, v22, v23, vcc_lo
	s_delay_alu instid0(VALU_DEP_3) | instskip(NEXT) | instid1(VALU_DEP_1)
	v_mad_u32 v0, v0, s29, s33
	v_mad_u32 v2, s1, v0, s26
	v_cndmask_b32_e32 v0, v16, v17, vcc_lo
	global_store_b64 v2, v[0:1], s[18:19] scale_offset
.LBB22_134:
	s_sendmsg sendmsg(MSG_DEALLOC_VGPRS)
	s_endpgm
	.section	.rodata,"a",@progbits
	.p2align	6, 0x0
	.amdhsa_kernel _ZL18flash_attn_ext_vecILi128ELi2EL9ggml_type1ELS0_1ELb1EEvPKcS2_S2_S2_S2_PKiPfP15HIP_vector_typeIfLj2EEffffjfiS6_IjLj3EEiiiiiiiiiiiliiliiiiil
		.amdhsa_group_segment_fixed_size 12800
		.amdhsa_private_segment_fixed_size 0
		.amdhsa_kernarg_size 464
		.amdhsa_user_sgpr_count 4
		.amdhsa_user_sgpr_dispatch_ptr 1
		.amdhsa_user_sgpr_queue_ptr 0
		.amdhsa_user_sgpr_kernarg_segment_ptr 1
		.amdhsa_user_sgpr_dispatch_id 0
		.amdhsa_user_sgpr_kernarg_preload_length 0
		.amdhsa_user_sgpr_kernarg_preload_offset 0
		.amdhsa_user_sgpr_private_segment_size 0
		.amdhsa_wavefront_size32 1
		.amdhsa_uses_dynamic_stack 0
		.amdhsa_enable_private_segment 0
		.amdhsa_system_sgpr_workgroup_id_x 1
		.amdhsa_system_sgpr_workgroup_id_y 1
		.amdhsa_system_sgpr_workgroup_id_z 1
		.amdhsa_system_sgpr_workgroup_info 0
		.amdhsa_system_vgpr_workitem_id 2
		.amdhsa_next_free_vgpr 187
		.amdhsa_next_free_sgpr 53
		.amdhsa_named_barrier_count 0
		.amdhsa_reserve_vcc 1
		.amdhsa_float_round_mode_32 0
		.amdhsa_float_round_mode_16_64 0
		.amdhsa_float_denorm_mode_32 3
		.amdhsa_float_denorm_mode_16_64 3
		.amdhsa_fp16_overflow 0
		.amdhsa_memory_ordered 1
		.amdhsa_forward_progress 1
		.amdhsa_inst_pref_size 125
		.amdhsa_round_robin_scheduling 0
		.amdhsa_exception_fp_ieee_invalid_op 0
		.amdhsa_exception_fp_denorm_src 0
		.amdhsa_exception_fp_ieee_div_zero 0
		.amdhsa_exception_fp_ieee_overflow 0
		.amdhsa_exception_fp_ieee_underflow 0
		.amdhsa_exception_fp_ieee_inexact 0
		.amdhsa_exception_int_div_zero 0
	.end_amdhsa_kernel
	.section	.text._ZL18flash_attn_ext_vecILi128ELi2EL9ggml_type1ELS0_1ELb1EEvPKcS2_S2_S2_S2_PKiPfP15HIP_vector_typeIfLj2EEffffjfiS6_IjLj3EEiiiiiiiiiiiliiliiiiil,"axG",@progbits,_ZL18flash_attn_ext_vecILi128ELi2EL9ggml_type1ELS0_1ELb1EEvPKcS2_S2_S2_S2_PKiPfP15HIP_vector_typeIfLj2EEffffjfiS6_IjLj3EEiiiiiiiiiiiliiliiiiil,comdat
.Lfunc_end22:
	.size	_ZL18flash_attn_ext_vecILi128ELi2EL9ggml_type1ELS0_1ELb1EEvPKcS2_S2_S2_S2_PKiPfP15HIP_vector_typeIfLj2EEffffjfiS6_IjLj3EEiiiiiiiiiiiliiliiiiil, .Lfunc_end22-_ZL18flash_attn_ext_vecILi128ELi2EL9ggml_type1ELS0_1ELb1EEvPKcS2_S2_S2_S2_PKiPfP15HIP_vector_typeIfLj2EEffffjfiS6_IjLj3EEiiiiiiiiiiiliiliiiiil
                                        ; -- End function
	.set _ZL18flash_attn_ext_vecILi128ELi2EL9ggml_type1ELS0_1ELb1EEvPKcS2_S2_S2_S2_PKiPfP15HIP_vector_typeIfLj2EEffffjfiS6_IjLj3EEiiiiiiiiiiiliiliiiiil.num_vgpr, 187
	.set _ZL18flash_attn_ext_vecILi128ELi2EL9ggml_type1ELS0_1ELb1EEvPKcS2_S2_S2_S2_PKiPfP15HIP_vector_typeIfLj2EEffffjfiS6_IjLj3EEiiiiiiiiiiiliiliiiiil.num_agpr, 0
	.set _ZL18flash_attn_ext_vecILi128ELi2EL9ggml_type1ELS0_1ELb1EEvPKcS2_S2_S2_S2_PKiPfP15HIP_vector_typeIfLj2EEffffjfiS6_IjLj3EEiiiiiiiiiiiliiliiiiil.numbered_sgpr, 53
	.set _ZL18flash_attn_ext_vecILi128ELi2EL9ggml_type1ELS0_1ELb1EEvPKcS2_S2_S2_S2_PKiPfP15HIP_vector_typeIfLj2EEffffjfiS6_IjLj3EEiiiiiiiiiiiliiliiiiil.num_named_barrier, 0
	.set _ZL18flash_attn_ext_vecILi128ELi2EL9ggml_type1ELS0_1ELb1EEvPKcS2_S2_S2_S2_PKiPfP15HIP_vector_typeIfLj2EEffffjfiS6_IjLj3EEiiiiiiiiiiiliiliiiiil.private_seg_size, 0
	.set _ZL18flash_attn_ext_vecILi128ELi2EL9ggml_type1ELS0_1ELb1EEvPKcS2_S2_S2_S2_PKiPfP15HIP_vector_typeIfLj2EEffffjfiS6_IjLj3EEiiiiiiiiiiiliiliiiiil.uses_vcc, 1
	.set _ZL18flash_attn_ext_vecILi128ELi2EL9ggml_type1ELS0_1ELb1EEvPKcS2_S2_S2_S2_PKiPfP15HIP_vector_typeIfLj2EEffffjfiS6_IjLj3EEiiiiiiiiiiiliiliiiiil.uses_flat_scratch, 0
	.set _ZL18flash_attn_ext_vecILi128ELi2EL9ggml_type1ELS0_1ELb1EEvPKcS2_S2_S2_S2_PKiPfP15HIP_vector_typeIfLj2EEffffjfiS6_IjLj3EEiiiiiiiiiiiliiliiiiil.has_dyn_sized_stack, 0
	.set _ZL18flash_attn_ext_vecILi128ELi2EL9ggml_type1ELS0_1ELb1EEvPKcS2_S2_S2_S2_PKiPfP15HIP_vector_typeIfLj2EEffffjfiS6_IjLj3EEiiiiiiiiiiiliiliiiiil.has_recursion, 0
	.set _ZL18flash_attn_ext_vecILi128ELi2EL9ggml_type1ELS0_1ELb1EEvPKcS2_S2_S2_S2_PKiPfP15HIP_vector_typeIfLj2EEffffjfiS6_IjLj3EEiiiiiiiiiiiliiliiiiil.has_indirect_call, 0
	.section	.AMDGPU.csdata,"",@progbits
; Kernel info:
; codeLenInByte = 15892
; TotalNumSgprs: 55
; NumVgprs: 187
; ScratchSize: 0
; MemoryBound: 0
; FloatMode: 240
; IeeeMode: 1
; LDSByteSize: 12800 bytes/workgroup (compile time only)
; SGPRBlocks: 0
; VGPRBlocks: 11
; NumSGPRsForWavesPerEU: 55
; NumVGPRsForWavesPerEU: 187
; NamedBarCnt: 0
; Occupancy: 5
; WaveLimiterHint : 1
; COMPUTE_PGM_RSRC2:SCRATCH_EN: 0
; COMPUTE_PGM_RSRC2:USER_SGPR: 4
; COMPUTE_PGM_RSRC2:TRAP_HANDLER: 0
; COMPUTE_PGM_RSRC2:TGID_X_EN: 1
; COMPUTE_PGM_RSRC2:TGID_Y_EN: 1
; COMPUTE_PGM_RSRC2:TGID_Z_EN: 1
; COMPUTE_PGM_RSRC2:TIDIG_COMP_CNT: 2
	.section	.text._ZL18flash_attn_ext_vecILi256ELi1EL9ggml_type1ELS0_1ELb0EEvPKcS2_S2_S2_S2_PKiPfP15HIP_vector_typeIfLj2EEffffjfiS6_IjLj3EEiiiiiiiiiiiliiliiiiil,"axG",@progbits,_ZL18flash_attn_ext_vecILi256ELi1EL9ggml_type1ELS0_1ELb0EEvPKcS2_S2_S2_S2_PKiPfP15HIP_vector_typeIfLj2EEffffjfiS6_IjLj3EEiiiiiiiiiiiliiliiiiil,comdat
	.globl	_ZL18flash_attn_ext_vecILi256ELi1EL9ggml_type1ELS0_1ELb0EEvPKcS2_S2_S2_S2_PKiPfP15HIP_vector_typeIfLj2EEffffjfiS6_IjLj3EEiiiiiiiiiiiliiliiiiil ; -- Begin function _ZL18flash_attn_ext_vecILi256ELi1EL9ggml_type1ELS0_1ELb0EEvPKcS2_S2_S2_S2_PKiPfP15HIP_vector_typeIfLj2EEffffjfiS6_IjLj3EEiiiiiiiiiiiliiliiiiil
	.p2align	8
	.type	_ZL18flash_attn_ext_vecILi256ELi1EL9ggml_type1ELS0_1ELb0EEvPKcS2_S2_S2_S2_PKiPfP15HIP_vector_typeIfLj2EEffffjfiS6_IjLj3EEiiiiiiiiiiiliiliiiiil,@function
_ZL18flash_attn_ext_vecILi256ELi1EL9ggml_type1ELS0_1ELb0EEvPKcS2_S2_S2_S2_PKiPfP15HIP_vector_typeIfLj2EEffffjfiS6_IjLj3EEiiiiiiiiiiiliiliiiiil: ; @_ZL18flash_attn_ext_vecILi256ELi1EL9ggml_type1ELS0_1ELb0EEvPKcS2_S2_S2_S2_PKiPfP15HIP_vector_typeIfLj2EEffffjfiS6_IjLj3EEiiiiiiiiiiiliiliiiiil
; %bb.0:
	s_clause 0x2
	s_load_b64 s[24:25], s[0:1], 0x64
	s_load_b64 s[28:29], s[0:1], 0x80
	;; [unrolled: 1-line block ×3, first 2 shown]
	s_bfe_u32 s6, ttmp6, 0x40014
	s_lshr_b32 s5, ttmp7, 16
	s_add_co_i32 s6, s6, 1
	s_bfe_u32 s7, ttmp6, 0x40008
	s_mul_i32 s6, s5, s6
	s_getreg_b32 s27, hwreg(HW_REG_IB_STS2, 6, 4)
	s_add_co_i32 s7, s7, s6
	s_load_b128 s[20:23], s[0:1], 0x40
	v_mov_b32_e32 v46, 1.0
	s_mov_b32 s37, 0
	s_wait_kmcnt 0x0
	s_cvt_f32_u32 s4, s25
	s_sub_co_i32 s8, 0, s25
	s_delay_alu instid0(SALU_CYCLE_2) | instskip(SKIP_1) | instid1(TRANS32_DEP_1)
	v_rcp_iflag_f32_e32 v1, s4
	v_nop
	v_readfirstlane_b32 s4, v1
	s_mul_f32 s4, s4, 0x4f7ffffe
	s_delay_alu instid0(SALU_CYCLE_3) | instskip(NEXT) | instid1(SALU_CYCLE_3)
	s_cvt_u32_f32 s4, s4
	s_mul_i32 s8, s8, s4
	s_delay_alu instid0(SALU_CYCLE_1) | instskip(NEXT) | instid1(SALU_CYCLE_1)
	s_mul_hi_u32 s8, s4, s8
	s_add_co_i32 s4, s4, s8
	s_cmp_eq_u32 s27, 0
	s_cselect_b32 s5, s5, s7
	s_delay_alu instid0(SALU_CYCLE_1) | instskip(NEXT) | instid1(SALU_CYCLE_1)
	s_mul_hi_u32 s4, s5, s4
	s_mul_i32 s6, s4, s25
	s_add_co_i32 s7, s4, 1
	s_sub_co_i32 s6, s5, s6
	s_delay_alu instid0(SALU_CYCLE_1)
	s_sub_co_i32 s8, s6, s25
	s_cmp_ge_u32 s6, s25
	s_cselect_b32 s4, s7, s4
	s_cselect_b32 s6, s8, s6
	s_add_co_i32 s7, s4, 1
	s_cmp_ge_u32 s6, s25
	s_cselect_b32 s26, s7, s4
	s_abs_i32 s4, s29
	s_abs_i32 s9, s25
	s_cvt_f32_u32 s6, s4
	s_sub_co_i32 s7, 0, s4
	s_xor_b32 s8, s25, s29
	s_delay_alu instid0(SALU_CYCLE_1) | instskip(SKIP_2) | instid1(TRANS32_DEP_1)
	v_rcp_iflag_f32_e32 v1, s6
	s_ashr_i32 s8, s8, 31
	v_nop
	v_readfirstlane_b32 s6, v1
	s_mul_f32 s6, s6, 0x4f7ffffe
	s_delay_alu instid0(SALU_CYCLE_3) | instskip(NEXT) | instid1(SALU_CYCLE_3)
	s_cvt_u32_f32 s6, s6
	s_mul_i32 s7, s7, s6
	s_delay_alu instid0(SALU_CYCLE_1) | instskip(NEXT) | instid1(SALU_CYCLE_1)
	s_mul_hi_u32 s7, s6, s7
	s_add_co_i32 s6, s6, s7
	s_mul_i32 s7, s26, s25
	s_mul_hi_u32 s6, s9, s6
	s_sub_co_i32 s29, s5, s7
	s_mul_i32 s10, s6, s4
	s_add_co_i32 s7, s6, 1
	s_sub_co_i32 s5, s9, s10
	s_delay_alu instid0(SALU_CYCLE_1)
	s_sub_co_i32 s9, s5, s4
	s_cmp_ge_u32 s5, s4
	s_cselect_b32 s6, s7, s6
	s_cselect_b32 s5, s9, s5
	s_add_co_i32 s7, s6, 1
	s_cmp_ge_u32 s5, s4
	s_cselect_b32 s4, s7, s6
	s_abs_i32 s2, s2
	s_xor_b32 s5, s4, s8
	s_load_b32 s4, s[0:1], 0x50
	s_sub_co_i32 s34, s5, s8
	s_cvt_f32_u32 s5, s2
	s_abs_i32 s30, s34
	s_cmp_le_f32 s21, 0
	s_cvt_f32_u32 s6, s30
	v_rcp_iflag_f32_e32 v1, s5
	s_delay_alu instid0(SALU_CYCLE_2) | instskip(NEXT) | instid1(TRANS32_DEP_2)
	v_rcp_iflag_f32_e32 v2, s6
	v_readfirstlane_b32 s21, v1
	s_delay_alu instid0(TRANS32_DEP_1)
	v_readfirstlane_b32 s35, v2
	s_cbranch_scc1 .LBB23_2
; %bb.1:
	s_wait_kmcnt 0x0
	v_sub_co_u32 v1, s4, s29, s4
	s_and_b32 s6, s4, exec_lo
	s_cselect_b32 s6, s22, s23
	s_add_co_i32 s7, s29, 1
	v_readfirstlane_b32 s5, v1
	s_lshl_b32 s5, s5, 1
	s_delay_alu instid0(SALU_CYCLE_1) | instskip(SKIP_4) | instid1(SALU_CYCLE_3)
	s_or_b32 s5, s5, 1
	s_and_b32 s4, s4, exec_lo
	s_cselect_b32 s4, s7, s5
	s_cmp_neq_f32 s6, 1.0
	s_cvt_f32_i32 s4, s4
	s_cselect_b32 s5, s4, 1.0
	s_delay_alu instid0(SALU_CYCLE_1) | instskip(SKIP_1) | instid1(SALU_CYCLE_1)
	s_cmp_neq_f32 s5, 0
	s_cselect_b32 s4, s6, 1.0
	v_cvt_f64_f32_e64 v[2:3], |s4|
	s_delay_alu instid0(VALU_DEP_1) | instskip(SKIP_1) | instid1(VALU_DEP_1)
	v_frexp_exp_i32_f64_e32 v1, v[2:3]
	v_frexp_mant_f32_e64 v2, |s4|
	v_readfirstlane_b32 s6, v2
	s_cmp_lt_f32 s6, 0x3f2aaaab
	s_cselect_b32 vcc_lo, -1, 0
	s_delay_alu instid0(SALU_CYCLE_1) | instskip(SKIP_1) | instid1(SALU_CYCLE_1)
	s_and_b32 s7, vcc_lo, exec_lo
	s_cselect_b32 s7, 2.0, 1.0
	s_mul_f32 s6, s6, s7
	s_delay_alu instid0(SALU_CYCLE_3) | instskip(SKIP_1) | instid1(SALU_CYCLE_2)
	s_add_f32 s7, s6, 1.0
	s_add_f32 s9, s6, -1.0
	v_s_rcp_f32 s8, s7
	s_add_f32 s12, s7, -1.0
	v_subrev_co_ci_u32_e64 v1, null, 0, v1, vcc_lo
	s_delay_alu instid0(SALU_CYCLE_2) | instskip(NEXT) | instid1(TRANS32_DEP_1)
	s_sub_f32 s6, s6, s12
	s_mul_f32 s10, s9, s8
	v_cvt_f32_i32_e32 v1, v1
	s_delay_alu instid0(SALU_CYCLE_2) | instskip(NEXT) | instid1(SALU_CYCLE_3)
	s_mul_f32 s11, s7, s10
	v_dual_mov_b32 v3, s9 :: v_dual_mov_b32 v4, s11
	s_xor_b32 s13, s11, 0x80000000
	s_delay_alu instid0(SALU_CYCLE_1) | instskip(NEXT) | instid1(SALU_CYCLE_3)
	s_fmac_f32 s13, s10, s7
	s_fmac_f32 s13, s10, s6
	s_delay_alu instid0(SALU_CYCLE_3) | instskip(SKIP_2) | instid1(SALU_CYCLE_1)
	s_add_f32 s6, s11, s13
	v_mov_b32_e32 v6, s13
	s_mov_b32 s11, 0x3e76c4e1
	s_sub_f32 s7, s9, s6
	v_dual_mov_b32 v2, s6 :: v_dual_mov_b32 v7, s6
	s_delay_alu instid0(SALU_CYCLE_2) | instskip(NEXT) | instid1(VALU_DEP_1)
	v_mov_b32_e32 v5, s7
	v_pk_add_f32 v[2:3], v[2:3], v[4:5] neg_lo:[0,1] neg_hi:[0,1]
	s_delay_alu instid0(VALU_DEP_1) | instskip(NEXT) | instid1(VALU_DEP_1)
	v_pk_add_f32 v[2:3], v[2:3], v[6:7] neg_lo:[0,1] neg_hi:[0,1]
	v_readfirstlane_b32 s6, v3
	s_delay_alu instid0(VALU_DEP_2) | instskip(SKIP_1) | instid1(SALU_CYCLE_3)
	v_readfirstlane_b32 s9, v2
	s_add_f32 s6, s9, s6
	s_add_f32 s6, s7, s6
	s_delay_alu instid0(SALU_CYCLE_3) | instskip(NEXT) | instid1(SALU_CYCLE_3)
	s_mul_f32 s7, s8, s6
	s_add_f32 s6, s10, s7
	s_delay_alu instid0(SALU_CYCLE_3) | instskip(SKIP_1) | instid1(SALU_CYCLE_2)
	s_sub_f32 s8, s6, s10
	s_mul_f32 s9, s6, s6
	s_sub_f32 s10, s7, s8
	s_delay_alu instid0(SALU_CYCLE_2) | instskip(NEXT) | instid1(SALU_CYCLE_1)
	s_xor_b32 s7, s9, 0x80000000
	s_fmac_f32 s7, s6, s6
	s_delay_alu instid0(SALU_CYCLE_1) | instskip(NEXT) | instid1(SALU_CYCLE_3)
	s_add_f32 s8, s10, s10
	s_fmac_f32 s7, s6, s8
	s_delay_alu instid0(SALU_CYCLE_3) | instskip(NEXT) | instid1(SALU_CYCLE_3)
	s_add_f32 s8, s9, s7
	s_fmaak_f32 s11, s8, s11, 0x3e91f4c4
	s_sub_f32 s9, s8, s9
	s_delay_alu instid0(SALU_CYCLE_2) | instskip(NEXT) | instid1(SALU_CYCLE_2)
	s_fmaak_f32 s11, s8, s11, 0x3ecccdef
	s_sub_f32 s14, s7, s9
	s_delay_alu instid0(SALU_CYCLE_2) | instskip(NEXT) | instid1(SALU_CYCLE_3)
	s_mul_f32 s12, s8, s11
	s_xor_b32 s13, s12, 0x80000000
	s_delay_alu instid0(SALU_CYCLE_1) | instskip(NEXT) | instid1(SALU_CYCLE_3)
	s_fmac_f32 s13, s8, s11
	s_fmac_f32 s13, s14, s11
	s_delay_alu instid0(SALU_CYCLE_3) | instskip(NEXT) | instid1(SALU_CYCLE_3)
	s_add_f32 s9, s12, s13
	s_sub_f32 s7, s9, s12
	s_add_f32 s11, s9, 0x3f2aaaaa
	s_delay_alu instid0(SALU_CYCLE_2) | instskip(NEXT) | instid1(SALU_CYCLE_2)
	s_sub_f32 s7, s13, s7
	s_add_f32 s12, s11, 0xbf2aaaaa
	s_delay_alu instid0(SALU_CYCLE_2) | instskip(NEXT) | instid1(SALU_CYCLE_2)
	s_add_f32 s7, s7, 0x31739010
	s_sub_f32 s9, s9, s12
	s_delay_alu instid0(SALU_CYCLE_2) | instskip(NEXT) | instid1(SALU_CYCLE_2)
	v_mov_b64_e32 v[2:3], s[6:7]
	v_mov_b64_e32 v[4:5], s[8:9]
	s_delay_alu instid0(VALU_DEP_1) | instskip(SKIP_2) | instid1(VALU_DEP_3)
	v_pk_mul_f32 v[6:7], v[2:3], v[4:5]
	v_pk_add_f32 v[2:3], v[2:3], v[4:5]
	v_mov_b32_e32 v9, s11
	v_xor_b32_e32 v8, 0x80000000, v6
	s_delay_alu instid0(VALU_DEP_3) | instskip(NEXT) | instid1(VALU_DEP_2)
	v_mov_b32_e32 v7, v3
	v_fmac_f32_e64 v8, s8, s6
	s_delay_alu instid0(VALU_DEP_1) | instskip(NEXT) | instid1(VALU_DEP_1)
	v_fmac_f32_e64 v8, s8, s10
	v_fmac_f32_e64 v8, s14, s6
	s_delay_alu instid0(VALU_DEP_1) | instskip(NEXT) | instid1(VALU_DEP_1)
	v_pk_add_f32 v[4:5], v[6:7], v[8:9]
	v_dual_mov_b32 v2, v5 :: v_dual_sub_f32 v7, s11, v5
	v_mul_f32_e32 v12, 0x3f317218, v1
	s_delay_alu instid0(VALU_DEP_2) | instskip(NEXT) | instid1(VALU_DEP_3)
	v_pk_mul_f32 v[10:11], v[4:5], v[2:3]
	v_add_f32_e32 v3, v3, v7
	s_delay_alu instid0(VALU_DEP_3) | instskip(NEXT) | instid1(VALU_DEP_3)
	v_xor_b32_e32 v7, 0x80000000, v12
	v_xor_b32_e32 v2, 0x80000000, v10
	s_delay_alu instid0(VALU_DEP_2) | instskip(NEXT) | instid1(VALU_DEP_2)
	v_dual_sub_f32 v6, v4, v6 :: v_dual_fmac_f32 v7, 0x3f317218, v1
	v_fmac_f32_e32 v2, v4, v5
	s_delay_alu instid0(VALU_DEP_2) | instskip(NEXT) | instid1(VALU_DEP_2)
	v_sub_f32_e32 v6, v8, v6
	v_fmac_f32_e32 v2, v4, v3
	s_delay_alu instid0(VALU_DEP_1) | instskip(SKIP_3) | instid1(VALU_DEP_2)
	v_fmac_f32_e32 v2, v6, v5
	v_fmamk_f32 v4, v1, 0xb102e308, v7
	v_ldexp_f32 v5, s6, 1
	v_ldexp_f32 v1, s10, 1
	v_dual_add_f32 v13, v10, v2 :: v_dual_mov_b32 v11, v5
	s_delay_alu instid0(VALU_DEP_1) | instskip(SKIP_1) | instid1(VALU_DEP_2)
	v_pk_add_f32 v[6:7], v[12:13], v[4:5]
	v_dual_mov_b32 v8, v13 :: v_dual_mov_b32 v3, v13
	v_dual_mov_b32 v9, v7 :: v_dual_mov_b32 v5, v6
	v_mov_b32_e32 v14, v7
	s_delay_alu instid0(VALU_DEP_2) | instskip(NEXT) | instid1(VALU_DEP_1)
	v_pk_add_f32 v[8:9], v[8:9], v[10:11] neg_lo:[0,1] neg_hi:[0,1]
	v_pk_add_f32 v[2:3], v[2:3], v[8:9] neg_lo:[0,1] neg_hi:[0,1]
	s_delay_alu instid0(VALU_DEP_1) | instskip(NEXT) | instid1(VALU_DEP_1)
	v_add_f32_e32 v1, v1, v2
	v_add_f32_e32 v13, v1, v3
	s_delay_alu instid0(VALU_DEP_1) | instskip(SKIP_1) | instid1(VALU_DEP_2)
	v_pk_add_f32 v[2:3], v[6:7], v[12:13]
	v_pk_add_f32 v[8:9], v[6:7], v[12:13] neg_lo:[0,1] neg_hi:[0,1]
	v_mov_b32_e32 v9, v3
	s_delay_alu instid0(VALU_DEP_1) | instskip(SKIP_2) | instid1(VALU_DEP_3)
	v_pk_add_f32 v[10:11], v[4:5], v[8:9]
	v_pk_add_f32 v[4:5], v[4:5], v[8:9] neg_lo:[0,1] neg_hi:[0,1]
	v_dual_mov_b32 v16, v3 :: v_dual_mov_b32 v5, v6
	v_dual_mov_b32 v12, v11 :: v_dual_mov_b32 v17, v11
	s_delay_alu instid0(VALU_DEP_3) | instskip(NEXT) | instid1(VALU_DEP_2)
	v_readfirstlane_b32 s6, v4
	v_pk_add_f32 v[8:9], v[12:13], v[6:7] neg_lo:[0,1] neg_hi:[0,1]
	s_delay_alu instid0(VALU_DEP_2) | instskip(NEXT) | instid1(VALU_DEP_2)
	v_dual_mov_b32 v4, v13 :: v_dual_mov_b32 v10, s6
	v_dual_mov_b32 v15, v8 :: v_dual_mov_b32 v1, v8
	s_delay_alu instid0(VALU_DEP_1) | instskip(NEXT) | instid1(VALU_DEP_2)
	v_pk_add_f32 v[6:7], v[16:17], v[14:15] neg_lo:[0,1] neg_hi:[0,1]
	v_pk_add_f32 v[2:3], v[2:3], v[0:1] neg_lo:[0,1] neg_hi:[0,1]
	v_mov_b32_e32 v2, s6
	s_delay_alu instid0(VALU_DEP_3) | instskip(NEXT) | instid1(VALU_DEP_1)
	v_pk_add_f32 v[4:5], v[4:5], v[6:7] neg_lo:[0,1] neg_hi:[0,1]
	v_pk_add_f32 v[2:3], v[2:3], v[4:5]
	s_delay_alu instid0(VALU_DEP_1) | instskip(NEXT) | instid1(VALU_DEP_2)
	v_readfirstlane_b32 s7, v2
	v_mov_b32_e32 v6, v3
	s_delay_alu instid0(VALU_DEP_1) | instskip(NEXT) | instid1(VALU_DEP_3)
	v_pk_add_f32 v[6:7], v[2:3], v[6:7]
	v_mov_b32_e32 v2, s7
	s_delay_alu instid0(VALU_DEP_2) | instskip(SKIP_1) | instid1(VALU_DEP_2)
	v_pk_add_f32 v[8:9], v[12:13], v[6:7]
	v_mov_b32_e32 v5, v6
	v_readfirstlane_b32 s8, v8
	s_delay_alu instid0(VALU_DEP_1) | instskip(NEXT) | instid1(VALU_DEP_1)
	v_mov_b32_e32 v3, s8
	v_pk_add_f32 v[2:3], v[2:3], v[10:11] neg_lo:[0,1] neg_hi:[0,1]
	s_delay_alu instid0(VALU_DEP_1) | instskip(NEXT) | instid1(VALU_DEP_2)
	v_readfirstlane_b32 s9, v2
	v_pk_add_f32 v[2:3], v[4:5], v[2:3] neg_lo:[0,1] neg_hi:[0,1]
	s_sub_f32 s7, s7, s9
	s_delay_alu instid0(VALU_DEP_1) | instskip(NEXT) | instid1(SALU_CYCLE_2)
	v_readfirstlane_b32 s9, v2
	s_sub_f32 s6, s6, s7
	v_readfirstlane_b32 s7, v3
	s_delay_alu instid0(SALU_CYCLE_2) | instskip(NEXT) | instid1(SALU_CYCLE_3)
	s_add_f32 s6, s9, s6
	s_add_f32 s6, s6, s7
	s_delay_alu instid0(SALU_CYCLE_3) | instskip(NEXT) | instid1(SALU_CYCLE_3)
	s_add_f32 s7, s8, s6
	s_mul_f32 s9, s5, s7
	s_sub_f32 s8, s7, s8
	s_delay_alu instid0(SALU_CYCLE_2) | instskip(NEXT) | instid1(SALU_CYCLE_2)
	s_xor_b32 s10, s9, 0x80000000
	s_sub_f32 s6, s6, s8
	s_fmac_f32 s10, s5, s7
	s_delay_alu instid0(SALU_CYCLE_3) | instskip(SKIP_1) | instid1(SALU_CYCLE_2)
	s_fmac_f32 s10, s5, s6
	v_cmp_class_f32_e64 s6, s9, 0x204
	s_add_f32 s7, s9, s10
	s_and_b32 s6, s6, exec_lo
	s_delay_alu instid0(SALU_CYCLE_2) | instskip(SKIP_1) | instid1(SALU_CYCLE_1)
	s_sub_f32 s6, s7, s9
	s_cselect_b32 s7, s9, s7
	s_and_b32 s8, s7, 0x7fffffff
	s_delay_alu instid0(SALU_CYCLE_1) | instskip(SKIP_1) | instid1(SALU_CYCLE_2)
	s_sub_f32 s6, s10, s6
	s_cmp_neq_f32 s8, 0x7f800000
	s_cselect_b32 s6, s6, 0
	s_cmp_eq_f32 s7, 0x42b17218
	s_cselect_b32 s8, 0x37000000, 0
	s_delay_alu instid0(SALU_CYCLE_1) | instskip(SKIP_1) | instid1(SALU_CYCLE_2)
	s_sub_f32 s7, s7, s8
	s_add_f32 s6, s8, s6
	s_mul_f32 s9, s7, 0x3fb8aa3b
	s_delay_alu instid0(SALU_CYCLE_3) | instskip(SKIP_3) | instid1(SALU_CYCLE_1)
	s_xor_b32 s10, s9, 0x80000000
	s_rndne_f32 s11, s9
	s_fmamk_f32 s10, s7, 0x3fb8aa3b, s10
	s_cmp_nlt_f32 s7, 0xc2ce8ed0
	s_sub_f32 s9, s9, s11
	s_delay_alu instid0(SALU_CYCLE_1)
	s_fmamk_f32 s10, s7, 0x32a5705f, s10
	s_cselect_b32 vcc_lo, -1, 0
	s_cmp_ngt_f32 s7, 0x42b17218
	s_trunc_f32 s7, s5
	s_add_f32 s9, s9, s10
	s_cvt_i32_f32 s10, s11
	s_delay_alu instid0(SALU_CYCLE_2)
	v_s_exp_f32 s9, s9
	v_nop
	s_delay_alu instid0(TRANS32_DEP_1) | instid1(SALU_CYCLE_1)
	v_ldexp_f32 v1, s9, s10
	s_mul_f32 s9, s5, 0.5
	s_delay_alu instid0(VALU_DEP_1) | instskip(SKIP_3) | instid1(VALU_DEP_1)
	v_cndmask_b32_e32 v1, 0, v1, vcc_lo
	s_cselect_b32 vcc_lo, -1, 0
	s_cmp_eq_f32 s7, s5
	s_trunc_f32 s10, s9
	v_cndmask_b32_e32 v1, 0x7f800000, v1, vcc_lo
	s_cselect_b32 s11, -1, 0
	s_delay_alu instid0(SALU_CYCLE_1) | instskip(NEXT) | instid1(VALU_DEP_1)
	s_cmp_neq_f32 s10, s9
	v_fma_f32 v2, s6, v1, v1
	v_cmp_class_f32_e64 vcc_lo, v1, 0x204
	s_cselect_b32 s8, -1, 0
	s_delay_alu instid0(SALU_CYCLE_1)
	s_and_b32 s6, s11, s8
	v_cndmask_b32_e32 v1, v2, v1, vcc_lo
	s_and_b32 s8, s6, exec_lo
	s_cselect_b32 s8, s4, 1.0
	s_cmp_eq_f32 s7, s5
	v_cmp_class_f32_e64 s7, s4, 0x204
	v_bfi_b32 v1, 0x7fffffff, v1, s8
	s_cselect_b32 vcc_lo, -1, 0
	s_cmp_lt_f32 s4, 0
	s_delay_alu instid0(VALU_DEP_1) | instskip(SKIP_2) | instid1(VALU_DEP_1)
	v_cndmask_b32_e32 v2, 0x7fc00000, v1, vcc_lo
	s_cselect_b32 vcc_lo, -1, 0
	s_cmp_eq_f32 s4, 0
	v_cndmask_b32_e32 v1, v1, v2, vcc_lo
	s_cselect_b32 s8, -1, 0
	s_delay_alu instid0(SALU_CYCLE_1) | instskip(SKIP_2) | instid1(SALU_CYCLE_1)
	s_or_b32 vcc_lo, s8, s7
	s_cmp_lt_f32 s5, 0
	s_cselect_b32 s5, -1, 0
	s_xor_b32 s5, s5, s8
	s_delay_alu instid0(SALU_CYCLE_1)
	s_and_b32 s5, s5, exec_lo
	s_cselect_b32 s5, 0, 0x7f800000
	s_and_b32 s6, s6, exec_lo
	s_cselect_b32 s6, s4, 0
	s_cmp_o_f32 s4, s4
	v_mov_b32_e32 v2, s6
	s_delay_alu instid0(VALU_DEP_1) | instskip(NEXT) | instid1(VALU_DEP_1)
	v_bfi_b32 v2, 0x7fffffff, s5, v2
	v_cndmask_b32_e32 v1, v1, v2, vcc_lo
	s_cselect_b32 vcc_lo, -1, 0
	s_delay_alu instid0(VALU_DEP_1)
	v_cndmask_b32_e32 v46, 0x7fc00000, v1, vcc_lo
.LBB23_2:
	s_load_b96 s[40:42], s[0:1], 0x70
	s_wait_kmcnt 0x0
	s_load_b512 s[4:19], s[0:1], 0x0
	s_bfe_u32 s22, ttmp6, 0x4000c
	v_and_b32_e32 v43, 0x3ff, v0
	s_add_co_i32 s22, s22, 1
	s_and_b32 s23, ttmp6, 15
	s_mul_i32 s22, ttmp9, s22
	s_delay_alu instid0(VALU_DEP_1) | instskip(SKIP_3) | instid1(VALU_DEP_1)
	v_dual_mov_b32 v47, 0 :: v_dual_lshlrev_b32 v41, 2, v43
	s_add_co_i32 s23, s23, s22
	s_cmp_eq_u32 s27, 0
	s_cselect_b32 s33, ttmp9, s23
	v_and_b32_e32 v42, 28, v41
	s_delay_alu instid0(VALU_DEP_1) | instskip(SKIP_4) | instid1(SALU_CYCLE_1)
	v_lshlrev_b32_e32 v1, 3, v42
	s_mul_i32 s22, s26, s42
	s_mul_i32 s23, s40, s33
	;; [unrolled: 1-line block ×3, first 2 shown]
	s_add_co_i32 s22, s22, s23
	s_add_co_i32 s22, s22, s31
	s_delay_alu instid0(SALU_CYCLE_1)
	s_ashr_i32 s23, s22, 31
	s_wait_kmcnt 0x0
	s_cmp_eq_u64 s[14:15], 0
	s_add_nc_u64 s[4:5], s[4:5], s[22:23]
	s_clause 0x7
	global_load_b128 v[22:25], v1, s[4:5] offset:16
	global_load_b128 v[30:33], v1, s[4:5]
	global_load_b128 v[14:17], v1, s[4:5] offset:272
	global_load_b128 v[26:29], v1, s[4:5] offset:256
	;; [unrolled: 1-line block ×6, first 2 shown]
	s_cbranch_scc1 .LBB23_4
; %bb.3:
	s_wait_xcnt 0x0
	s_load_b32 s4, s[0:1], 0xd0
	s_wait_kmcnt 0x0
	s_mul_i32 s4, s4, s26
	s_delay_alu instid0(SALU_CYCLE_1)
	s_add_co_i32 s4, s4, s33
	s_load_b32 s28, s[14:15], s4 offset:0x0 scale_offset
.LBB23_4:
	v_bfe_u32 v44, v0, 10, 10
	s_wait_xcnt 0x0
	s_bfe_u32 s5, ttmp6, 0x40010
	s_and_b32 s4, ttmp7, 0xffff
	s_add_co_i32 s5, s5, 1
	s_bfe_u32 s14, ttmp6, 0x40004
	v_lshlrev_b32_e32 v34, 5, v44
	s_mul_i32 s5, s4, s5
	v_mbcnt_lo_u32_b32 v45, -1, 0
	s_add_co_i32 s14, s14, s5
	s_cmp_eq_u32 s27, 0
	v_add_nc_u32_e32 v40, v34, v43
	s_cselect_b32 s40, s4, s14
	s_mov_b32 s31, 0
	s_lshl_b32 s41, s40, 7
	s_add_nc_u64 s[14:15], s[0:1], 0xd0
	v_lshlrev_b32_e32 v1, 1, v40
	s_wait_kmcnt 0x0
	s_cmp_ge_i32 s41, s28
	s_cbranch_scc1 .LBB23_24
; %bb.5:
	s_mul_f32 s4, s35, 0x4f7ffffe
	s_mul_f32 s5, s21, 0x4f7ffffe
	s_sub_co_i32 s21, 0, s30
	s_sub_co_i32 s22, 0, s2
	s_cvt_u32_f32 s23, s4
	s_cvt_u32_f32 s5, s5
	s_cvt_f16_f32 s20, s20
	s_abs_i32 s36, s29
	s_mul_i32 s21, s21, s23
	s_mul_i32 s22, s22, s5
	s_mul_hi_u32 s21, s23, s21
	s_mul_hi_u32 s27, s5, s22
	s_add_co_i32 s22, s23, s21
	s_mov_b32 s23, s37
	s_and_b32 s20, 0xffff, s20
	s_ashr_i32 s45, s34, 31
	s_mul_u64 s[42:43], s[36:37], s[22:23]
	s_mul_i32 s46, s20, 0x10001
	s_clause 0x1
	s_load_b64 s[34:35], s[0:1], 0x8c
	s_load_b128 s[20:23], s[0:1], 0x98
	s_wait_loadcnt 0x6
	v_cvt_pk_f16_f32 v0, v30, v31
	s_wait_loadcnt 0x1
	v_cvt_pk_f16_f32 v2, v2, v3
	s_abs_i32 s4, s26
	s_add_co_i32 s38, s5, s27
	s_mov_b32 s5, s37
	v_pk_mul_f16 v76, v0, s46
	v_and_b32_e32 v0, 0x78, v43
	s_mov_b32 s39, s37
	v_pk_mul_f16 v90, v2, s46
	s_mul_u64 s[38:39], s[4:5], s[38:39]
	s_mul_i32 s5, s43, s30
	v_add_nc_u32_e32 v0, v34, v0
	s_ashr_i32 s44, s29, 31
	s_sub_co_i32 s5, s36, s5
	s_ashr_i32 s27, s26, 31
	s_xor_b32 s37, s44, s45
	s_add_co_i32 s36, s43, 1
	s_sub_co_i32 s38, s5, s30
	s_wait_kmcnt 0x0
	v_mul_lo_u32 v2, v0, s34
	s_cmp_ge_u32 s5, s30
	v_cvt_pk_f16_f32 v6, v6, v7
	s_cselect_b32 s36, s36, s43
	s_cselect_b32 s5, s38, s5
	v_cvt_pk_f16_f32 v3, v4, v5
	s_add_co_i32 s38, s36, 1
	s_cmp_ge_u32 s5, s30
	v_cvt_pk_f16_f32 v14, v14, v15
	s_cselect_b32 s5, s38, s36
	v_cvt_pk_f16_f32 v15, v16, v17
	v_add_nc_u32_e32 v4, s34, v2
	v_cvt_pk_f16_f32 v16, v18, v19
	v_cvt_pk_f16_f32 v7, v8, v9
	s_wait_loadcnt 0x0
	v_cvt_pk_f16_f32 v8, v10, v11
	v_pk_mul_f16 v86, v6, s46
	s_xor_b32 s5, s5, s37
	v_dual_add_nc_u32 v6, s34, v4 :: v_dual_lshlrev_b32 v5, 3, v43
	s_sub_co_i32 s5, s5, s37
	s_clause 0x1
	s_load_b64 s[42:43], s[0:1], 0xa8
	s_load_b64 s[44:45], s[0:1], 0xc8
	s_mul_i32 s30, s39, s2
	s_mul_i32 s36, s5, s35
	;; [unrolled: 1-line block ×3, first 2 shown]
	s_sub_co_i32 s4, s4, s30
	v_pk_mul_f16 v84, v16, s46
	v_pk_mul_f16 v88, v8, s46
	v_dual_add_nc_u32 v8, s34, v6 :: v_dual_bitop2_b32 v16, 7, v43 bitop3:0x40
	s_ashr_i32 s37, s36, 31
	s_ashr_i32 s39, s38, 31
	s_sub_co_i32 s5, s4, s2
	s_cmp_ge_u32 s4, s2
	v_cvt_pk_f16_f32 v17, v20, v21
	s_cselect_b32 s4, s5, s4
	v_pk_mul_f16 v91, v3, s46
	v_dual_ashrrev_i32 v3, 31, v2 :: v_dual_add_nc_u32 v10, s34, v8
	s_sub_co_i32 s5, s4, s2
	s_cmp_ge_u32 s4, s2
	v_cvt_pk_f16_f32 v9, v12, v13
	s_cselect_b32 s2, s5, s4
	v_pk_mul_f16 v85, v17, s46
	v_dual_lshrrev_b32 v17, 3, v43 :: v_dual_bitop2_b32 v36, 56, v5 bitop3:0x40
	v_add_nc_u32_e32 v12, s34, v10
	s_mul_u64 s[4:5], s[20:21], s[26:27]
	s_xor_b32 s2, s2, s27
	s_add_nc_u64 s[4:5], s[6:7], s[4:5]
	s_sub_co_i32 s6, s2, s27
	v_pk_mul_f16 v82, v14, s46
	v_pk_mul_f16 v89, v9, s46
	s_ashr_i32 s7, s6, 31
	v_dual_ashrrev_i32 v9, 31, v8 :: v_dual_ashrrev_i32 v11, 31, v10
	v_dual_add_nc_u32 v14, s34, v12 :: v_dual_add_nc_u32 v21, v34, v17
	v_ashrrev_i32_e32 v13, 31, v12
	s_wait_kmcnt 0x0
	s_mul_u64 s[6:7], s[44:45], s[6:7]
	s_mul_i32 s2, s3, s33
	s_mul_u64 s[20:21], s[42:43], s[26:27]
	s_add_nc_u64 s[6:7], s[10:11], s[6:7]
	s_ashr_i32 s3, s2, 31
	v_cvt_pk_f16_f32 v22, v22, v23
	v_cvt_pk_f16_f32 v23, v24, v25
	;; [unrolled: 1-line block ×3, first 2 shown]
	v_pk_mul_f16 v83, v15, s46
	v_dual_ashrrev_i32 v15, 31, v14 :: v_dual_bitop2_b32 v19, v34, v17 bitop3:0x54
	v_add_nc_u32_e32 v17, 4, v21
	s_add_nc_u64 s[8:9], s[8:9], s[20:21]
	s_add_nc_u64 s[2:3], s[6:7], s[2:3]
	s_lshl_b32 s30, s41, 1
	s_add_nc_u64 s[6:7], s[8:9], s[38:39]
	s_add_nc_u64 s[20:21], s[2:3], s[30:31]
	s_mul_i32 s30, s22, s41
	v_cvt_pk_f16_f32 v30, v32, v33
	v_cvt_pk_f16_f32 v24, v26, v27
	v_pk_mul_f16 v78, v22, s46
	v_pk_mul_f16 v79, v23, s46
	;; [unrolled: 1-line block ×3, first 2 shown]
	s_add_nc_u64 s[38:39], s[4:5], s[36:37]
	s_add_nc_u64 s[36:37], s[6:7], s[30:31]
	v_cmp_eq_u32_e64 s2, 7, v16
	v_cmp_eq_u32_e64 s3, 0, v16
	v_cmp_eq_u32_e64 s4, 1, v16
	v_cmp_eq_u32_e64 s5, 2, v16
	v_cmp_eq_u32_e64 s6, 3, v16
	v_cmp_eq_u32_e64 s7, 4, v16
	v_cmp_eq_u32_e64 s8, 5, v16
	v_add_nc_u32_e32 v22, 8, v21
	v_cmp_eq_u32_e64 s9, 6, v16
	v_add_nc_u32_e32 v16, s34, v14
	v_mul_lo_u32 v20, v17, s22
	v_dual_add_nc_u32 v17, 12, v21 :: v_dual_bitop2_b32 v23, 16, v19 bitop3:0x54
	v_dual_add_nc_u32 v25, 20, v21 :: v_dual_add_nc_u32 v27, 24, v21
	v_add_nc_u32_e32 v29, 28, v21
	v_pk_mul_f16 v77, v30, s46
	v_pk_mul_f16 v80, v24, s46
	v_mul_lo_u32 v18, v19, s22
	v_mul_lo_u32 v22, v22, s22
	;; [unrolled: 1-line block ×7, first 2 shown]
	v_pk_mul_f16 v87, v7, s46
	v_dual_ashrrev_i32 v5, 31, v4 :: v_dual_ashrrev_i32 v7, 31, v6
	v_dual_ashrrev_i32 v17, 31, v16 :: v_dual_lshlrev_b32 v64, 1, v19
	v_dual_ashrrev_i32 v19, 31, v18 :: v_dual_lshlrev_b32 v65, 1, v21
	v_dual_ashrrev_i32 v21, 31, v20 :: v_dual_ashrrev_i32 v23, 31, v22
	v_dual_ashrrev_i32 v25, 31, v24 :: v_dual_ashrrev_i32 v27, 31, v26
	;; [unrolled: 1-line block ×3, first 2 shown]
	v_dual_mov_b32 v48, 0 :: v_dual_ashrrev_i32 v33, 31, v32
	v_dual_mov_b32 v67, 0xfeffffff :: v_dual_lshlrev_b32 v34, 1, v36
	v_dual_mov_b32 v49, 0 :: v_dual_mov_b32 v47, 0
	v_dual_mov_b32 v51, 0 :: v_dual_mov_b32 v50, 0
	;; [unrolled: 1-line block ×8, first 2 shown]
	v_mov_b32_e32 v37, 0
	s_mul_i32 s30, s34, s41
	s_cmp_lg_u64 s[10:11], 0
	s_add_nc_u64 s[10:11], s[38:39], s[30:31]
	s_cselect_b32 s23, -1, 0
                                        ; implicit-def: $vgpr66
.LBB23_6:                               ; =>This Inner Loop Header: Depth=1
	v_dual_mov_b32 v75, v37 :: v_dual_lshlrev_b32 v36, 2, v42
	s_delay_alu instid0(VALU_DEP_1) | instskip(NEXT) | instid1(VALU_DEP_1)
	v_add_nc_u64_e32 v[38:39], s[10:11], v[36:37]
	v_add_nc_u64_e32 v[72:73], v[38:39], v[2:3]
	global_load_b128 v[68:71], v[72:73], off
	s_wait_loadcnt 0x0
	;;#ASMSTART
	v_dot2_f32_f16 v75, v68, v76, v75
	;;#ASMEND
	;;#ASMSTART
	v_dot2_f32_f16 v75, v69, v77, v75
	;;#ASMEND
	;;#ASMSTART
	v_dot2_f32_f16 v75, v70, v78, v75
	;;#ASMEND
	;;#ASMSTART
	v_dot2_f32_f16 v75, v71, v79, v75
	;;#ASMEND
	global_load_b128 v[68:71], v[72:73], off offset:128
	s_wait_loadcnt 0x0
	;;#ASMSTART
	v_dot2_f32_f16 v75, v68, v80, v75
	;;#ASMEND
	;;#ASMSTART
	v_dot2_f32_f16 v75, v69, v81, v75
	;;#ASMEND
	;;#ASMSTART
	v_dot2_f32_f16 v75, v70, v82, v75
	;;#ASMEND
	;;#ASMSTART
	v_dot2_f32_f16 v75, v71, v83, v75
	;;#ASMEND
	global_load_b128 v[68:71], v[72:73], off offset:256
	;; [unrolled: 14-line block ×3, first 2 shown]
	s_wait_loadcnt 0x0
	;;#ASMSTART
	v_dot2_f32_f16 v75, v68, v88, v75
	;;#ASMEND
	v_xor_b32_e32 v68, 2, v45
	v_and_b32_e32 v35, 24, v45
	v_xor_b32_e32 v36, 4, v45
	;;#ASMSTART
	v_dot2_f32_f16 v75, v69, v89, v75
	;;#ASMEND
	;;#ASMSTART
	v_dot2_f32_f16 v75, v70, v90, v75
	;;#ASMEND
	;;#ASMSTART
	v_dot2_f32_f16 v75, v71, v91, v75
	;;#ASMEND
	v_add_nc_u32_e32 v72, 8, v35
	s_delay_alu instid0(VALU_DEP_1) | instskip(SKIP_2) | instid1(VALU_DEP_2)
	v_cmp_lt_i32_e32 vcc_lo, v36, v72
	v_cndmask_b32_e32 v35, v45, v36, vcc_lo
	v_cmp_lt_i32_e32 vcc_lo, v68, v72
	v_dual_cndmask_b32 v68, v45, v68 :: v_dual_lshlrev_b32 v35, 2, v35
	s_delay_alu instid0(VALU_DEP_1)
	v_lshlrev_b32_e32 v74, 2, v68
	ds_bpermute_b32 v36, v35, v75
	s_wait_dscnt 0x0
	v_add_f32_e32 v36, v75, v36
	ds_bpermute_b32 v68, v74, v36
	s_wait_dscnt 0x0
	v_dual_add_f32 v36, v36, v68 :: v_dual_bitop2_b32 v69, 1, v45 bitop3:0x14
	s_delay_alu instid0(VALU_DEP_1) | instskip(SKIP_2) | instid1(VALU_DEP_1)
	v_cmp_lt_i32_e32 vcc_lo, v69, v72
	v_cndmask_b32_e32 v69, v45, v69, vcc_lo
	s_and_b32 vcc_lo, exec_lo, s23
	v_lshlrev_b32_e32 v75, 2, v69
	ds_bpermute_b32 v68, v75, v36
	s_wait_dscnt 0x0
	v_add_f32_e32 v36, v36, v68
	s_cbranch_vccz .LBB23_8
; %bb.7:                                ;   in Loop: Header=BB23_6 Depth=1
	global_load_u16 v68, v0, s[20:21] scale_offset
	s_wait_loadcnt 0x0
	v_fma_mix_f32 v36, v46, v68, v36 op_sel_hi:[0,1,0]
.LBB23_8:                               ;   in Loop: Header=BB23_6 Depth=1
	v_add_nc_u64_e32 v[72:73], v[38:39], v[4:5]
	v_mov_b32_e32 v92, v37
	s_and_not1_b32 vcc_lo, exec_lo, s23
	global_load_b128 v[68:71], v[72:73], off
	s_wait_loadcnt 0x0
	;;#ASMSTART
	v_dot2_f32_f16 v92, v68, v76, v92
	;;#ASMEND
	;;#ASMSTART
	v_dot2_f32_f16 v92, v69, v77, v92
	;;#ASMEND
	;;#ASMSTART
	v_dot2_f32_f16 v92, v70, v78, v92
	;;#ASMEND
	;;#ASMSTART
	v_dot2_f32_f16 v92, v71, v79, v92
	;;#ASMEND
	global_load_b128 v[68:71], v[72:73], off offset:128
	s_wait_loadcnt 0x0
	;;#ASMSTART
	v_dot2_f32_f16 v92, v68, v80, v92
	;;#ASMEND
	;;#ASMSTART
	v_dot2_f32_f16 v92, v69, v81, v92
	;;#ASMEND
	;;#ASMSTART
	v_dot2_f32_f16 v92, v70, v82, v92
	;;#ASMEND
	;;#ASMSTART
	v_dot2_f32_f16 v92, v71, v83, v92
	;;#ASMEND
	global_load_b128 v[68:71], v[72:73], off offset:256
	;; [unrolled: 14-line block ×3, first 2 shown]
	s_wait_loadcnt 0x0
	;;#ASMSTART
	v_dot2_f32_f16 v92, v68, v88, v92
	;;#ASMEND
	;;#ASMSTART
	v_dot2_f32_f16 v92, v69, v89, v92
	;;#ASMEND
	;;#ASMSTART
	v_dot2_f32_f16 v92, v70, v90, v92
	;;#ASMEND
	;;#ASMSTART
	v_dot2_f32_f16 v92, v71, v91, v92
	;;#ASMEND
	ds_bpermute_b32 v68, v35, v92
	s_wait_dscnt 0x0
	v_add_f32_e32 v68, v92, v68
	ds_bpermute_b32 v69, v74, v68
	s_wait_dscnt 0x0
	v_add_f32_e32 v68, v68, v69
	ds_bpermute_b32 v69, v75, v68
	s_wait_dscnt 0x0
	v_add_f32_e32 v68, v68, v69
	s_cbranch_vccnz .LBB23_10
; %bb.9:                                ;   in Loop: Header=BB23_6 Depth=1
	global_load_u16 v69, v0, s[20:21] offset:2 scale_offset
	s_wait_loadcnt 0x0
	v_fma_mix_f32 v68, v46, v69, v68 op_sel_hi:[0,1,0]
.LBB23_10:                              ;   in Loop: Header=BB23_6 Depth=1
	v_add_nc_u64_e32 v[92:93], v[38:39], v[6:7]
	v_mov_b32_e32 v94, v37
	s_and_not1_b32 vcc_lo, exec_lo, s23
	global_load_b128 v[70:73], v[92:93], off
	s_wait_loadcnt 0x0
	;;#ASMSTART
	v_dot2_f32_f16 v94, v70, v76, v94
	;;#ASMEND
	;;#ASMSTART
	v_dot2_f32_f16 v94, v71, v77, v94
	;;#ASMEND
	;;#ASMSTART
	v_dot2_f32_f16 v94, v72, v78, v94
	;;#ASMEND
	;;#ASMSTART
	v_dot2_f32_f16 v94, v73, v79, v94
	;;#ASMEND
	global_load_b128 v[70:73], v[92:93], off offset:128
	s_wait_loadcnt 0x0
	;;#ASMSTART
	v_dot2_f32_f16 v94, v70, v80, v94
	;;#ASMEND
	;;#ASMSTART
	v_dot2_f32_f16 v94, v71, v81, v94
	;;#ASMEND
	;;#ASMSTART
	v_dot2_f32_f16 v94, v72, v82, v94
	;;#ASMEND
	;;#ASMSTART
	v_dot2_f32_f16 v94, v73, v83, v94
	;;#ASMEND
	global_load_b128 v[70:73], v[92:93], off offset:256
	s_wait_loadcnt 0x0
	;;#ASMSTART
	v_dot2_f32_f16 v94, v70, v84, v94
	;;#ASMEND
	;;#ASMSTART
	v_dot2_f32_f16 v94, v71, v85, v94
	;;#ASMEND
	;;#ASMSTART
	v_dot2_f32_f16 v94, v72, v86, v94
	;;#ASMEND
	;;#ASMSTART
	v_dot2_f32_f16 v94, v73, v87, v94
	;;#ASMEND
	global_load_b128 v[70:73], v[92:93], off offset:384
	s_wait_loadcnt 0x0
	;;#ASMSTART
	v_dot2_f32_f16 v94, v70, v88, v94
	;;#ASMEND
	;;#ASMSTART
	v_dot2_f32_f16 v94, v71, v89, v94
	;;#ASMEND
	;; [unrolled: 3-line block ×4, first 2 shown]
	ds_bpermute_b32 v69, v35, v94
	s_wait_dscnt 0x0
	v_add_f32_e32 v69, v94, v69
	ds_bpermute_b32 v70, v74, v69
	s_wait_dscnt 0x0
	v_add_f32_e32 v69, v69, v70
	;; [unrolled: 3-line block ×3, first 2 shown]
	s_cbranch_vccnz .LBB23_12
; %bb.11:                               ;   in Loop: Header=BB23_6 Depth=1
	global_load_u16 v70, v0, s[20:21] offset:4 scale_offset
	s_wait_loadcnt 0x0
	v_fma_mix_f32 v69, v46, v70, v69 op_sel_hi:[0,1,0]
.LBB23_12:                              ;   in Loop: Header=BB23_6 Depth=1
	v_add_nc_u64_e32 v[92:93], v[38:39], v[8:9]
	v_mov_b32_e32 v94, v37
	s_and_not1_b32 vcc_lo, exec_lo, s23
	global_load_b128 v[70:73], v[92:93], off
	s_wait_loadcnt 0x0
	;;#ASMSTART
	v_dot2_f32_f16 v94, v70, v76, v94
	;;#ASMEND
	;;#ASMSTART
	v_dot2_f32_f16 v94, v71, v77, v94
	;;#ASMEND
	;;#ASMSTART
	v_dot2_f32_f16 v94, v72, v78, v94
	;;#ASMEND
	;;#ASMSTART
	v_dot2_f32_f16 v94, v73, v79, v94
	;;#ASMEND
	global_load_b128 v[70:73], v[92:93], off offset:128
	s_wait_loadcnt 0x0
	;;#ASMSTART
	v_dot2_f32_f16 v94, v70, v80, v94
	;;#ASMEND
	;;#ASMSTART
	v_dot2_f32_f16 v94, v71, v81, v94
	;;#ASMEND
	;;#ASMSTART
	v_dot2_f32_f16 v94, v72, v82, v94
	;;#ASMEND
	;;#ASMSTART
	v_dot2_f32_f16 v94, v73, v83, v94
	;;#ASMEND
	global_load_b128 v[70:73], v[92:93], off offset:256
	;; [unrolled: 14-line block ×3, first 2 shown]
	s_wait_loadcnt 0x0
	;;#ASMSTART
	v_dot2_f32_f16 v94, v70, v88, v94
	;;#ASMEND
	;;#ASMSTART
	v_dot2_f32_f16 v94, v71, v89, v94
	;;#ASMEND
	;; [unrolled: 3-line block ×4, first 2 shown]
	ds_bpermute_b32 v70, v35, v94
	s_wait_dscnt 0x0
	v_add_f32_e32 v70, v94, v70
	ds_bpermute_b32 v71, v74, v70
	s_wait_dscnt 0x0
	v_add_f32_e32 v70, v70, v71
	;; [unrolled: 3-line block ×3, first 2 shown]
	s_cbranch_vccnz .LBB23_14
; %bb.13:                               ;   in Loop: Header=BB23_6 Depth=1
	global_load_u16 v71, v0, s[20:21] offset:6 scale_offset
	s_wait_loadcnt 0x0
	v_fma_mix_f32 v70, v46, v71, v70 op_sel_hi:[0,1,0]
.LBB23_14:                              ;   in Loop: Header=BB23_6 Depth=1
	v_add_nc_u64_e32 v[72:73], v[38:39], v[10:11]
	v_mov_b32_e32 v96, v37
	s_and_not1_b32 vcc_lo, exec_lo, s23
	global_load_b128 v[92:95], v[72:73], off
	s_wait_loadcnt 0x0
	;;#ASMSTART
	v_dot2_f32_f16 v96, v92, v76, v96
	;;#ASMEND
	;;#ASMSTART
	v_dot2_f32_f16 v96, v93, v77, v96
	;;#ASMEND
	;;#ASMSTART
	v_dot2_f32_f16 v96, v94, v78, v96
	;;#ASMEND
	;;#ASMSTART
	v_dot2_f32_f16 v96, v95, v79, v96
	;;#ASMEND
	global_load_b128 v[92:95], v[72:73], off offset:128
	s_wait_loadcnt 0x0
	;;#ASMSTART
	v_dot2_f32_f16 v96, v92, v80, v96
	;;#ASMEND
	;;#ASMSTART
	v_dot2_f32_f16 v96, v93, v81, v96
	;;#ASMEND
	;;#ASMSTART
	v_dot2_f32_f16 v96, v94, v82, v96
	;;#ASMEND
	;;#ASMSTART
	v_dot2_f32_f16 v96, v95, v83, v96
	;;#ASMEND
	global_load_b128 v[92:95], v[72:73], off offset:256
	;; [unrolled: 14-line block ×3, first 2 shown]
	s_wait_loadcnt 0x0
	;;#ASMSTART
	v_dot2_f32_f16 v96, v92, v88, v96
	;;#ASMEND
	;;#ASMSTART
	v_dot2_f32_f16 v96, v93, v89, v96
	;;#ASMEND
	;; [unrolled: 3-line block ×4, first 2 shown]
	ds_bpermute_b32 v71, v35, v96
	s_wait_dscnt 0x0
	v_add_f32_e32 v71, v96, v71
	ds_bpermute_b32 v72, v74, v71
	s_wait_dscnt 0x0
	v_add_f32_e32 v71, v71, v72
	;; [unrolled: 3-line block ×3, first 2 shown]
	s_cbranch_vccnz .LBB23_16
; %bb.15:                               ;   in Loop: Header=BB23_6 Depth=1
	global_load_u16 v72, v0, s[20:21] offset:8 scale_offset
	s_wait_loadcnt 0x0
	v_fma_mix_f32 v71, v46, v72, v71 op_sel_hi:[0,1,0]
.LBB23_16:                              ;   in Loop: Header=BB23_6 Depth=1
	v_add_nc_u64_e32 v[72:73], v[38:39], v[12:13]
	v_mov_b32_e32 v96, v37
	s_and_not1_b32 vcc_lo, exec_lo, s23
	global_load_b128 v[92:95], v[72:73], off
	s_wait_loadcnt 0x0
	;;#ASMSTART
	v_dot2_f32_f16 v96, v92, v76, v96
	;;#ASMEND
	;;#ASMSTART
	v_dot2_f32_f16 v96, v93, v77, v96
	;;#ASMEND
	;;#ASMSTART
	v_dot2_f32_f16 v96, v94, v78, v96
	;;#ASMEND
	;;#ASMSTART
	v_dot2_f32_f16 v96, v95, v79, v96
	;;#ASMEND
	global_load_b128 v[92:95], v[72:73], off offset:128
	s_wait_loadcnt 0x0
	;;#ASMSTART
	v_dot2_f32_f16 v96, v92, v80, v96
	;;#ASMEND
	;;#ASMSTART
	v_dot2_f32_f16 v96, v93, v81, v96
	;;#ASMEND
	;;#ASMSTART
	v_dot2_f32_f16 v96, v94, v82, v96
	;;#ASMEND
	;;#ASMSTART
	v_dot2_f32_f16 v96, v95, v83, v96
	;;#ASMEND
	global_load_b128 v[92:95], v[72:73], off offset:256
	;; [unrolled: 14-line block ×3, first 2 shown]
	s_wait_loadcnt 0x0
	;;#ASMSTART
	v_dot2_f32_f16 v96, v92, v88, v96
	;;#ASMEND
	;;#ASMSTART
	v_dot2_f32_f16 v96, v93, v89, v96
	;;#ASMEND
	;; [unrolled: 3-line block ×4, first 2 shown]
	ds_bpermute_b32 v72, v35, v96
	s_wait_dscnt 0x0
	v_add_f32_e32 v72, v96, v72
	ds_bpermute_b32 v73, v74, v72
	s_wait_dscnt 0x0
	v_add_f32_e32 v72, v72, v73
	;; [unrolled: 3-line block ×3, first 2 shown]
	s_cbranch_vccnz .LBB23_18
; %bb.17:                               ;   in Loop: Header=BB23_6 Depth=1
	global_load_u16 v73, v0, s[20:21] offset:10 scale_offset
	s_wait_loadcnt 0x0
	v_fma_mix_f32 v72, v46, v73, v72 op_sel_hi:[0,1,0]
.LBB23_18:                              ;   in Loop: Header=BB23_6 Depth=1
	v_add_nc_u64_e32 v[96:97], v[38:39], v[14:15]
	v_mov_b32_e32 v98, v37
	s_and_not1_b32 vcc_lo, exec_lo, s23
	global_load_b128 v[92:95], v[96:97], off
	s_wait_loadcnt 0x0
	;;#ASMSTART
	v_dot2_f32_f16 v98, v92, v76, v98
	;;#ASMEND
	;;#ASMSTART
	v_dot2_f32_f16 v98, v93, v77, v98
	;;#ASMEND
	;;#ASMSTART
	v_dot2_f32_f16 v98, v94, v78, v98
	;;#ASMEND
	;;#ASMSTART
	v_dot2_f32_f16 v98, v95, v79, v98
	;;#ASMEND
	global_load_b128 v[92:95], v[96:97], off offset:128
	s_wait_loadcnt 0x0
	;;#ASMSTART
	v_dot2_f32_f16 v98, v92, v80, v98
	;;#ASMEND
	;;#ASMSTART
	v_dot2_f32_f16 v98, v93, v81, v98
	;;#ASMEND
	;;#ASMSTART
	v_dot2_f32_f16 v98, v94, v82, v98
	;;#ASMEND
	;;#ASMSTART
	v_dot2_f32_f16 v98, v95, v83, v98
	;;#ASMEND
	global_load_b128 v[92:95], v[96:97], off offset:256
	;; [unrolled: 14-line block ×3, first 2 shown]
	s_wait_loadcnt 0x0
	;;#ASMSTART
	v_dot2_f32_f16 v98, v92, v88, v98
	;;#ASMEND
	;;#ASMSTART
	v_dot2_f32_f16 v98, v93, v89, v98
	;;#ASMEND
	;; [unrolled: 3-line block ×4, first 2 shown]
	ds_bpermute_b32 v73, v35, v98
	s_wait_dscnt 0x0
	v_add_f32_e32 v73, v98, v73
	ds_bpermute_b32 v92, v74, v73
	s_wait_dscnt 0x0
	v_add_f32_e32 v73, v73, v92
	;; [unrolled: 3-line block ×3, first 2 shown]
	s_cbranch_vccnz .LBB23_20
; %bb.19:                               ;   in Loop: Header=BB23_6 Depth=1
	global_load_u16 v92, v0, s[20:21] offset:12 scale_offset
	s_wait_loadcnt 0x0
	v_fma_mix_f32 v73, v46, v92, v73 op_sel_hi:[0,1,0]
.LBB23_20:                              ;   in Loop: Header=BB23_6 Depth=1
	v_add_nc_u64_e32 v[38:39], v[38:39], v[16:17]
	v_mov_b32_e32 v96, v37
	s_and_not1_b32 vcc_lo, exec_lo, s23
	global_load_b128 v[92:95], v[38:39], off
	s_wait_loadcnt 0x0
	;;#ASMSTART
	v_dot2_f32_f16 v96, v92, v76, v96
	;;#ASMEND
	;;#ASMSTART
	v_dot2_f32_f16 v96, v93, v77, v96
	;;#ASMEND
	;;#ASMSTART
	v_dot2_f32_f16 v96, v94, v78, v96
	;;#ASMEND
	;;#ASMSTART
	v_dot2_f32_f16 v96, v95, v79, v96
	;;#ASMEND
	global_load_b128 v[92:95], v[38:39], off offset:128
	s_wait_loadcnt 0x0
	;;#ASMSTART
	v_dot2_f32_f16 v96, v92, v80, v96
	;;#ASMEND
	;;#ASMSTART
	v_dot2_f32_f16 v96, v93, v81, v96
	;;#ASMEND
	;;#ASMSTART
	v_dot2_f32_f16 v96, v94, v82, v96
	;;#ASMEND
	;;#ASMSTART
	v_dot2_f32_f16 v96, v95, v83, v96
	;;#ASMEND
	global_load_b128 v[92:95], v[38:39], off offset:256
	;; [unrolled: 14-line block ×3, first 2 shown]
	s_wait_loadcnt 0x0
	;;#ASMSTART
	v_dot2_f32_f16 v96, v92, v88, v96
	;;#ASMEND
	;;#ASMSTART
	v_dot2_f32_f16 v96, v93, v89, v96
	;;#ASMEND
	;; [unrolled: 3-line block ×4, first 2 shown]
	ds_bpermute_b32 v35, v35, v96
	s_wait_dscnt 0x0
	v_add_f32_e32 v35, v96, v35
	ds_bpermute_b32 v38, v74, v35
	s_wait_dscnt 0x0
	v_add_f32_e32 v35, v35, v38
	;; [unrolled: 3-line block ×3, first 2 shown]
	s_cbranch_vccnz .LBB23_22
; %bb.21:                               ;   in Loop: Header=BB23_6 Depth=1
	global_load_u16 v35, v0, s[20:21] offset:14 scale_offset
	s_wait_loadcnt 0x0
	v_fma_mix_f32 v38, v46, v35, v38 op_sel_hi:[0,1,0]
.LBB23_22:                              ;   in Loop: Header=BB23_6 Depth=1
	v_add_nc_u64_e32 v[74:75], s[36:37], v[18:19]
	v_add_nc_u64_e32 v[104:105], s[36:37], v[20:21]
	v_mov_b32_e32 v35, v37
	v_add_nc_u64_e32 v[136:137], s[36:37], v[24:25]
	v_add_nc_u64_e32 v[168:169], s[36:37], v[28:29]
	;; [unrolled: 1-line block ×3, first 2 shown]
	v_add_f32_e32 v39, 0x40051340, v68
	v_add_nc_u64_e32 v[74:75], v[74:75], v[34:35]
	v_add_nc_u64_e32 v[128:129], v[104:105], v[34:35]
	s_mov_b32 s39, s31
	v_add_nc_u64_e32 v[160:161], v[136:137], v[34:35]
	v_add_nc_u64_e32 v[192:193], v[168:169], v[34:35]
	;; [unrolled: 1-line block ×3, first 2 shown]
	s_clause 0x4
	global_load_b128 v[92:95], v[74:75], off
	global_load_b128 v[96:99], v[74:75], off offset:128
	global_load_b128 v[100:103], v[74:75], off offset:256
	global_load_b128 v[104:107], v[74:75], off offset:384
	global_load_b128 v[108:111], v[128:129], off
	s_wait_xcnt 0x1
	v_add_nc_u64_e32 v[74:75], s[36:37], v[22:23]
	s_clause 0x1
	global_load_b128 v[112:115], v[128:129], off offset:128
	global_load_b128 v[116:119], v[128:129], off offset:256
	v_add_nc_u64_e32 v[74:75], v[74:75], v[34:35]
	s_clause 0x5
	global_load_b128 v[120:123], v[128:129], off offset:384
	global_load_b128 v[124:127], v[74:75], off
	global_load_b128 v[128:131], v[74:75], off offset:128
	global_load_b128 v[132:135], v[74:75], off offset:256
	global_load_b128 v[136:139], v[74:75], off offset:384
	global_load_b128 v[140:143], v[160:161], off
	s_wait_xcnt 0x1
	v_add_nc_u64_e32 v[74:75], s[36:37], v[26:27]
	s_clause 0x1
	global_load_b128 v[144:147], v[160:161], off offset:128
	global_load_b128 v[148:151], v[160:161], off offset:256
	v_add_nc_u64_e32 v[74:75], v[74:75], v[34:35]
	s_clause 0x5
	global_load_b128 v[152:155], v[160:161], off offset:384
	;; [unrolled: 13-line block ×3, first 2 shown]
	global_load_b128 v[188:191], v[74:75], off
	global_load_b128 v[192:195], v[74:75], off offset:128
	global_load_b128 v[196:199], v[74:75], off offset:256
	;; [unrolled: 1-line block ×3, first 2 shown]
	global_load_b128 v[204:207], v[220:221], off
	global_load_b128 v[208:211], v[220:221], off offset:128
	global_load_b128 v[212:215], v[220:221], off offset:256
	;; [unrolled: 1-line block ×3, first 2 shown]
	s_wait_xcnt 0x0
	v_dual_add_f32 v35, 0x40051340, v36 :: v_dual_add_f32 v220, 0x40051340, v71
	v_cndmask_b32_e64 v36, v66, v36, s3
	v_dual_add_f32 v74, 0x40051340, v69 :: v_dual_add_f32 v75, 0x40051340, v70
	s_delay_alu instid0(VALU_DEP_3) | instskip(SKIP_1) | instid1(VALU_DEP_4)
	v_max3_num_f32 v35, v67, v35, v39
	v_add_f32_e32 v221, 0x40051340, v72
	v_cndmask_b32_e64 v36, v36, v68, s4
	s_load_b32 s27, s[14:15], 0x4
	s_delay_alu instid0(VALU_DEP_3) | instskip(SKIP_1) | instid1(VALU_DEP_3)
	v_max3_num_f32 v35, v35, v74, v75
	v_add_f32_e32 v74, 0x40051340, v73
	v_cndmask_b32_e64 v36, v36, v69, s5
	s_delay_alu instid0(VALU_DEP_3) | instskip(NEXT) | instid1(VALU_DEP_2)
	v_max3_num_f32 v35, v35, v220, v221
	v_cndmask_b32_e64 v36, v36, v70, s6
	s_delay_alu instid0(VALU_DEP_1) | instskip(NEXT) | instid1(VALU_DEP_1)
	v_cndmask_b32_e64 v36, v36, v71, s7
	v_cndmask_b32_e64 v36, v36, v72, s8
	s_wait_kmcnt 0x0
	s_lshl_b32 s38, s27, 7
	s_delay_alu instid0(SALU_CYCLE_1)
	s_mul_i32 s30, s38, s34
	s_add_co_i32 s41, s38, s41
	v_cndmask_b32_e64 v36, v36, v73, s9
	s_add_nc_u64 s[10:11], s[10:11], s[30:31]
	s_mul_i32 s30, s38, s22
	s_lshl_b64 s[38:39], s[38:39], 1
	s_add_nc_u64 s[36:37], s[36:37], s[30:31]
	v_cndmask_b32_e64 v36, v36, v38, s2
	v_add_f32_e32 v75, 0x40051340, v38
	s_cmp_ge_i32 s41, s28
	s_add_nc_u64 s[20:21], s[20:21], s[38:39]
	s_delay_alu instid0(VALU_DEP_1) | instskip(SKIP_2) | instid1(VALU_DEP_1)
	v_max3_num_f32 v35, v35, v74, v75
	v_xor_b32_e32 v74, 16, v45
	v_xor_b32_e32 v39, 8, v45
	v_cmp_gt_i32_e32 vcc_lo, 32, v39
	v_cndmask_b32_e32 v39, v45, v39, vcc_lo
	s_delay_alu instid0(VALU_DEP_1) | instskip(SKIP_4) | instid1(VALU_DEP_2)
	v_lshlrev_b32_e32 v39, 2, v39
	ds_bpermute_b32 v39, v39, v35
	s_wait_dscnt 0x0
	v_max_num_f32_e32 v39, v39, v39
	v_cmp_gt_i32_e32 vcc_lo, 32, v74
	v_dual_max_num_f32 v35, v35, v39 :: v_dual_cndmask_b32 v74, v45, v74
	s_delay_alu instid0(VALU_DEP_1) | instskip(SKIP_3) | instid1(VALU_DEP_1)
	v_lshlrev_b32_e32 v66, 2, v74
	ds_bpermute_b32 v39, v66, v35
	s_wait_dscnt 0x0
	v_max_num_f32_e32 v39, v39, v39
	v_max_num_f32_e32 v35, v35, v39
	s_delay_alu instid0(VALU_DEP_1) | instskip(NEXT) | instid1(VALU_DEP_1)
	v_dual_sub_f32 v38, v67, v35 :: v_dual_sub_f32 v36, v36, v35
	v_dual_mul_f32 v39, 0x3fb8aa3b, v38 :: v_dual_mul_f32 v66, 0x3fb8aa3b, v36
	v_cmp_ngt_f32_e32 vcc_lo, 0xc2ce8ed0, v38
	s_delay_alu instid0(VALU_DEP_2) | instskip(SKIP_1) | instid1(VALU_DEP_4)
	v_fma_f32 v67, 0x3fb8aa3b, v38, -v39
	v_rndne_f32_e32 v68, v39
	v_fma_f32 v69, 0x3fb8aa3b, v36, -v66
	v_rndne_f32_e32 v70, v66
	s_delay_alu instid0(VALU_DEP_4) | instskip(NEXT) | instid1(VALU_DEP_2)
	v_fmac_f32_e32 v67, 0x32a5705f, v38
	v_dual_sub_f32 v39, v39, v68 :: v_dual_sub_f32 v66, v66, v70
	s_delay_alu instid0(VALU_DEP_1) | instskip(SKIP_2) | instid1(VALU_DEP_3)
	v_add_f32_e32 v39, v39, v67
	v_cvt_i32_f32_e32 v67, v68
	v_cvt_i32_f32_e32 v68, v70
	v_exp_f32_e32 v39, v39
	v_nop
	s_delay_alu instid0(TRANS32_DEP_1) | instskip(NEXT) | instid1(VALU_DEP_1)
	v_ldexp_f32 v39, v39, v67
	v_cndmask_b32_e32 v39, 0, v39, vcc_lo
	v_cmp_ngt_f32_e32 vcc_lo, 0xc2ce8ed0, v36
	v_fmac_f32_e32 v69, 0x32a5705f, v36
	s_delay_alu instid0(VALU_DEP_1) | instskip(NEXT) | instid1(VALU_DEP_1)
	v_add_f32_e32 v66, v66, v69
	v_exp_f32_e32 v66, v66
	v_nop
	s_delay_alu instid0(TRANS32_DEP_1) | instskip(NEXT) | instid1(VALU_DEP_1)
	v_ldexp_f32 v66, v66, v68
	v_cndmask_b32_e32 v66, 0, v66, vcc_lo
	v_cmp_nlt_f32_e32 vcc_lo, 0x42b17218, v38
	v_cndmask_b32_e32 v38, 0x7f800000, v39, vcc_lo
	v_cmp_nlt_f32_e32 vcc_lo, 0x42b17218, v36
	s_delay_alu instid0(VALU_DEP_2) | instskip(SKIP_1) | instid1(VALU_DEP_2)
	v_cvt_f16_f32_e32 v36, v38
	v_cndmask_b32_e32 v66, 0x7f800000, v66, vcc_lo
	v_and_b32_e32 v36, 0xffff, v36
	s_delay_alu instid0(VALU_DEP_2) | instskip(SKIP_1) | instid1(VALU_DEP_3)
	v_cvt_f16_f32_e32 v39, v66
	v_fma_f32 v47, v47, v38, v66
	v_mul_u32_u24_e32 v36, 0x10001, v36
	ds_store_b16 v1, v39
	ds_load_u16 v38, v64
	ds_load_u16 v39, v65 offset:8
	ds_load_u16 v67, v65 offset:16
	;; [unrolled: 1-line block ×7, first 2 shown]
	v_pk_mul_f16 v49, v49, v36
	v_pk_mul_f16 v63, v63, v36
	;; [unrolled: 1-line block ×16, first 2 shown]
	s_wait_dscnt 0x7
	v_mul_u32_u24_e32 v38, 0x10001, v38
	s_wait_dscnt 0x6
	v_mul_u32_u24_e32 v39, 0x10001, v39
	;; [unrolled: 2-line block ×5, first 2 shown]
	v_mul_u32_u24_e32 v69, 0x10001, v69
	v_mul_u32_u24_e32 v70, 0x10001, v70
	;; [unrolled: 1-line block ×3, first 2 shown]
	s_wait_loadcnt 0x1e
	v_pk_fma_f16 v60, v96, v38, v60
	v_pk_fma_f16 v49, v92, v38, v49
	v_pk_fma_f16 v63, v93, v38, v63
	v_pk_fma_f16 v61, v94, v38, v61
	v_pk_fma_f16 v62, v95, v38, v62
	v_pk_fma_f16 v59, v97, v38, v59
	v_pk_fma_f16 v58, v98, v38, v58
	v_pk_fma_f16 v57, v99, v38, v57
	s_wait_loadcnt 0x1d
	v_pk_fma_f16 v56, v100, v38, v56
	v_pk_fma_f16 v55, v101, v38, v55
	v_pk_fma_f16 v54, v102, v38, v54
	v_pk_fma_f16 v53, v103, v38, v53
	s_wait_loadcnt 0x1c
	v_pk_fma_f16 v52, v104, v38, v52
	v_pk_fma_f16 v51, v105, v38, v51
	v_pk_fma_f16 v50, v106, v38, v50
	v_pk_fma_f16 v36, v107, v38, v36
	;; [unrolled: 5-line block ×30, first 2 shown]
	s_cbranch_scc1 .LBB23_25
; %bb.23:                               ;   in Loop: Header=BB23_6 Depth=1
	v_mov_b32_e32 v67, v35
	s_branch .LBB23_6
.LBB23_24:
	v_dual_mov_b32 v49, 0 :: v_dual_mov_b32 v61, 0
	v_dual_mov_b32 v35, 0xfeffffff :: v_dual_mov_b32 v60, 0
	;; [unrolled: 1-line block ×8, first 2 shown]
	v_mov_b32_e32 v48, 0
.LBB23_25:
	v_or_b32_e32 v0, s40, v44
	s_cmp_lg_u64 s[12:13], 0
	s_cselect_b32 s2, -1, 0
	s_delay_alu instid0(VALU_DEP_1) | instskip(SKIP_1) | instid1(SALU_CYCLE_1)
	v_cmp_eq_u32_e32 vcc_lo, 0, v0
	s_and_b32 s3, vcc_lo, s2
	s_and_saveexec_b32 s2, s3
	s_cbranch_execz .LBB23_27
; %bb.26:
	s_wait_loadcnt 0x1
	v_dual_mov_b32 v0, s29 :: v_dual_max_num_f32 v2, v35, v35
	global_load_b32 v0, v0, s[12:13] scale_offset
	s_wait_loadcnt 0x0
	v_max_num_f32_e32 v3, v0, v0
	s_delay_alu instid0(VALU_DEP_1) | instskip(NEXT) | instid1(VALU_DEP_1)
	v_max_num_f32_e32 v2, v2, v3
	v_sub_f32_e32 v0, v0, v2
	s_delay_alu instid0(VALU_DEP_1) | instskip(SKIP_1) | instid1(VALU_DEP_2)
	v_mul_f32_e32 v5, 0x3fb8aa3b, v0
	v_dual_sub_f32 v3, v35, v2 :: v_dual_mov_b32 v35, v2
	v_rndne_f32_e32 v9, v5
	s_delay_alu instid0(VALU_DEP_2) | instskip(SKIP_1) | instid1(VALU_DEP_3)
	v_mul_f32_e32 v4, 0x3fb8aa3b, v3
	v_fma_f32 v8, 0x3fb8aa3b, v0, -v5
	v_sub_f32_e32 v5, v5, v9
	s_delay_alu instid0(VALU_DEP_3) | instskip(SKIP_1) | instid1(VALU_DEP_4)
	v_fma_f32 v6, 0x3fb8aa3b, v3, -v4
	v_rndne_f32_e32 v7, v4
	v_fmac_f32_e32 v8, 0x32a5705f, v0
	s_delay_alu instid0(VALU_DEP_2) | instskip(NEXT) | instid1(VALU_DEP_2)
	v_sub_f32_e32 v4, v4, v7
	v_dual_fmac_f32 v6, 0x32a5705f, v3 :: v_dual_add_f32 v5, v5, v8
	v_cmp_ngt_f32_e32 vcc_lo, 0xc2ce8ed0, v3
	s_delay_alu instid0(VALU_DEP_2) | instskip(SKIP_1) | instid1(VALU_DEP_4)
	v_add_f32_e32 v4, v4, v6
	v_cvt_i32_f32_e32 v6, v7
	v_exp_f32_e32 v5, v5
	v_cvt_i32_f32_e32 v7, v9
	s_delay_alu instid0(VALU_DEP_3)
	v_exp_f32_e32 v4, v4
	s_delay_alu instid0(TRANS32_DEP_2) | instid1(VALU_DEP_1)
	v_ldexp_f32 v5, v5, v7
	s_delay_alu instid0(TRANS32_DEP_1) | instskip(NEXT) | instid1(VALU_DEP_1)
	v_ldexp_f32 v4, v4, v6
	v_cndmask_b32_e32 v4, 0, v4, vcc_lo
	v_cmp_ngt_f32_e32 vcc_lo, 0xc2ce8ed0, v0
	s_delay_alu instid0(VALU_DEP_4) | instskip(SKIP_1) | instid1(VALU_DEP_4)
	v_cndmask_b32_e32 v5, 0, v5, vcc_lo
	v_cmp_nlt_f32_e32 vcc_lo, 0x42b17218, v3
	v_cndmask_b32_e32 v3, 0x7f800000, v4, vcc_lo
	v_cmp_nlt_f32_e32 vcc_lo, 0x42b17218, v0
	s_delay_alu instid0(VALU_DEP_2) | instskip(SKIP_2) | instid1(VALU_DEP_3)
	v_cvt_f16_f32_e32 v4, v3
	v_cndmask_b32_e32 v0, 0x7f800000, v5, vcc_lo
	v_cmp_eq_u32_e32 vcc_lo, 0, v43
	v_and_b32_e32 v4, 0xffff, v4
	s_delay_alu instid0(VALU_DEP_3) | instskip(NEXT) | instid1(VALU_DEP_1)
	v_cndmask_b32_e32 v0, 0, v0, vcc_lo
	v_fmac_f32_e32 v0, v47, v3
	s_delay_alu instid0(VALU_DEP_3) | instskip(NEXT) | instid1(VALU_DEP_2)
	v_mul_u32_u24_e32 v3, 0x10001, v4
	v_mov_b32_e32 v47, v0
	s_delay_alu instid0(VALU_DEP_2)
	v_pk_mul_f16 v49, v49, v3
	v_pk_mul_f16 v63, v63, v3
	;; [unrolled: 1-line block ×16, first 2 shown]
.LBB23_27:
	s_or_b32 exec_lo, exec_lo, s2
	s_delay_alu instid0(SALU_CYCLE_1)
	s_mov_b32 s2, exec_lo
	v_cmpx_eq_u32_e32 0, v44
	s_cbranch_execz .LBB23_29
; %bb.28:
	v_mov_b32_e32 v0, 0xfeffffff
	s_wait_loadcnt 0x1
	v_dual_mov_b32 v2, 0 :: v_dual_add_nc_u32 v3, 0x2000, v41
	ds_store_2addr_b32 v3, v0, v2 offset1:32
.LBB23_29:
	s_or_b32 exec_lo, exec_lo, s2
	v_cmp_eq_u32_e32 vcc_lo, 0, v43
	s_wait_loadcnt 0x3
	v_lshlrev_b32_e32 v7, 2, v44
	s_wait_loadcnt_dscnt 0x0
	s_barrier_signal -1
	s_barrier_wait -1
	s_and_saveexec_b32 s2, vcc_lo
; %bb.30:
	ds_store_b32 v7, v35 offset:8192
; %bb.31:
	s_or_b32 exec_lo, exec_lo, s2
	s_wait_dscnt 0x0
	s_barrier_signal -1
	s_barrier_wait -1
	ds_load_b32 v0, v41 offset:8192
	v_xor_b32_e32 v3, 8, v45
	v_xor_b32_e32 v2, 16, v45
	s_load_b32 s1, s[0:1], 0xd4
	v_dual_lshlrev_b32 v14, 6, v43 :: v_dual_bitop2_b32 v8, 1, v45 bitop3:0x14
	s_delay_alu instid0(VALU_DEP_2) | instskip(NEXT) | instid1(VALU_DEP_2)
	v_cmp_gt_i32_e64 s2, 32, v2
	v_and_b32_e32 v14, 0x1e00, v14
	s_delay_alu instid0(VALU_DEP_2) | instskip(NEXT) | instid1(VALU_DEP_2)
	v_cndmask_b32_e64 v2, v45, v2, s2
	v_lshl_add_u32 v14, v44, 11, v14
	s_delay_alu instid0(VALU_DEP_2) | instskip(NEXT) | instid1(VALU_DEP_2)
	v_lshlrev_b32_e32 v5, 2, v2
	v_lshl_or_b32 v14, v42, 2, v14
	s_wait_dscnt 0x0
	ds_bpermute_b32 v2, v5, v0
	s_wait_dscnt 0x0
	v_dual_max_num_f32 v0, v0, v0 :: v_dual_max_num_f32 v2, v2, v2
	s_delay_alu instid0(VALU_DEP_1) | instskip(SKIP_1) | instid1(VALU_DEP_1)
	v_max_num_f32_e32 v0, v0, v2
	v_cmp_gt_i32_e64 s2, 32, v3
	v_cndmask_b32_e64 v3, v45, v3, s2
	s_delay_alu instid0(VALU_DEP_1) | instskip(SKIP_3) | instid1(VALU_DEP_1)
	v_dual_lshlrev_b32 v6, 2, v3 :: v_dual_bitop2_b32 v3, 4, v45 bitop3:0x14
	ds_bpermute_b32 v2, v6, v0
	v_cmp_gt_i32_e64 s2, 32, v3
	s_wait_dscnt 0x0
	v_dual_cndmask_b32 v3, v45, v3, s2 :: v_dual_max_num_f32 v2, v2, v2
	s_delay_alu instid0(VALU_DEP_1) | instskip(SKIP_3) | instid1(VALU_DEP_1)
	v_dual_lshlrev_b32 v4, 2, v3 :: v_dual_max_num_f32 v0, v0, v2
	ds_bpermute_b32 v2, v4, v0
	s_wait_dscnt 0x0
	v_dual_max_num_f32 v2, v2, v2 :: v_dual_bitop2_b32 v3, 2, v45 bitop3:0x14
	v_cmp_gt_i32_e64 s2, 32, v3
	s_delay_alu instid0(VALU_DEP_1) | instskip(SKIP_1) | instid1(VALU_DEP_2)
	v_dual_max_num_f32 v0, v0, v2 :: v_dual_cndmask_b32 v3, v45, v3, s2
	v_cmp_gt_i32_e64 s2, 32, v8
	v_lshlrev_b32_e32 v3, 2, v3
	ds_bpermute_b32 v2, v3, v0
	s_wait_dscnt 0x0
	v_dual_cndmask_b32 v8, v45, v8, s2 :: v_dual_max_num_f32 v9, v2, v2
	s_delay_alu instid0(VALU_DEP_1) | instskip(SKIP_3) | instid1(VALU_DEP_1)
	v_dual_lshlrev_b32 v2, 2, v8 :: v_dual_max_num_f32 v0, v0, v9
	ds_bpermute_b32 v8, v2, v0
	s_wait_dscnt 0x0
	v_max_num_f32_e32 v8, v8, v8
	v_max_num_f32_e32 v0, v0, v8
	s_delay_alu instid0(VALU_DEP_1) | instskip(NEXT) | instid1(VALU_DEP_1)
	v_sub_f32_e32 v8, v35, v0
	v_mul_f32_e32 v9, 0x3fb8aa3b, v8
	s_delay_alu instid0(VALU_DEP_1) | instskip(SKIP_1) | instid1(VALU_DEP_1)
	v_fma_f32 v10, 0x3fb8aa3b, v8, -v9
	v_rndne_f32_e32 v11, v9
	v_dual_fmamk_f32 v10, v8, 0x32a5705f, v10 :: v_dual_sub_f32 v9, v9, v11
	s_delay_alu instid0(VALU_DEP_1) | instskip(SKIP_2) | instid1(VALU_DEP_3)
	v_add_f32_e32 v9, v9, v10
	v_cvt_i32_f32_e32 v10, v11
	v_cmp_ngt_f32_e64 s2, 0xc2ce8ed0, v8
	v_exp_f32_e32 v9, v9
	v_nop
	s_delay_alu instid0(TRANS32_DEP_1) | instskip(NEXT) | instid1(VALU_DEP_1)
	v_ldexp_f32 v9, v9, v10
	v_cndmask_b32_e64 v9, 0, v9, s2
	v_cmp_nlt_f32_e64 s2, 0x42b17218, v8
	s_delay_alu instid0(VALU_DEP_1) | instskip(NEXT) | instid1(VALU_DEP_1)
	v_cndmask_b32_e64 v8, 0x7f800000, v9, s2
	v_mul_f32_e32 v9, v47, v8
	ds_bpermute_b32 v9, v5, v9
	s_wait_dscnt 0x0
	v_fmac_f32_e32 v9, v47, v8
	v_cvt_f16_f32_e32 v8, v8
	ds_bpermute_b32 v10, v6, v9
	v_and_b32_e32 v8, 0xffff, v8
	s_delay_alu instid0(VALU_DEP_1) | instskip(NEXT) | instid1(VALU_DEP_1)
	v_mul_u32_u24_e32 v11, 0x10001, v8
	v_pk_mul_f16 v12, v49, v11
	v_pk_mul_f16 v16, v62, v11
	;; [unrolled: 1-line block ×9, first 2 shown]
	s_wait_dscnt 0x0
	v_add_f32_e32 v9, v9, v10
	v_pk_mul_f16 v21, v55, v11
	v_pk_mul_f16 v22, v54, v11
	;; [unrolled: 1-line block ×4, first 2 shown]
	ds_bpermute_b32 v10, v4, v9
	v_pk_mul_f16 v26, v50, v11
	s_wait_dscnt 0x0
	v_add_f32_e32 v9, v9, v10
	ds_bpermute_b32 v10, v3, v9
	s_wait_dscnt 0x0
	v_add_f32_e32 v8, v9, v10
	v_pk_mul_f16 v10, v60, v11
	v_pk_mul_f16 v11, v48, v11
	ds_store_2addr_b32 v14, v12, v16 offset1:3
	ds_store_2addr_b32 v14, v10, v19 offset0:32 offset1:35
	ds_store_2addr_b32 v14, v20, v23 offset0:64 offset1:67
	;; [unrolled: 1-line block ×7, first 2 shown]
	ds_bpermute_b32 v9, v2, v8
	s_wait_xcnt 0x0
	s_and_saveexec_b32 s0, vcc_lo
	s_cbranch_execz .LBB23_33
; %bb.32:
	s_wait_dscnt 0x0
	v_add_f32_e32 v8, v8, v9
	ds_store_b32 v7, v8 offset:8320
.LBB23_33:
	s_or_b32 exec_lo, exec_lo, s0
	s_wait_dscnt 0x0
	s_barrier_signal -1
	s_barrier_wait -1
	ds_load_b32 v7, v41 offset:8320
	ds_load_u16 v8, v1
	ds_load_u16 v9, v1 offset:1280
	ds_load_u16 v10, v1 offset:768
	;; [unrolled: 1-line block ×5, first 2 shown]
	s_mul_i32 s2, s26, s24
	s_delay_alu instid0(SALU_CYCLE_1) | instskip(NEXT) | instid1(SALU_CYCLE_1)
	s_add_co_i32 s2, s2, s33
	s_mul_i32 s2, s2, s25
	s_delay_alu instid0(SALU_CYCLE_1)
	s_add_co_i32 s2, s2, s29
	s_wait_dscnt 0x6
	ds_bpermute_b32 v5, v5, v7
	s_wait_dscnt 0x6
	v_cvt_f32_f16_e32 v8, v8
	s_wait_dscnt 0x5
	v_cvt_f32_f16_e32 v9, v9
	;; [unrolled: 2-line block ×4, first 2 shown]
	v_cvt_f32_f16_e32 v11, v11
	s_wait_dscnt 0x1
	v_cvt_f32_f16_e32 v13, v13
	s_delay_alu instid0(VALU_DEP_2) | instskip(NEXT) | instid1(VALU_DEP_1)
	v_dual_add_f32 v8, 0, v8 :: v_dual_add_f32 v11, 0, v11
	v_dual_add_f32 v8, v8, v12 :: v_dual_add_f32 v10, v11, v10
	s_delay_alu instid0(VALU_DEP_1)
	v_add_f32_e32 v8, v8, v13
	s_wait_dscnt 0x0
	v_add_f32_e32 v5, v7, v5
	ds_load_u16 v7, v1 offset:1536
	ds_load_u16 v14, v1 offset:2048
	;; [unrolled: 1-line block ×9, first 2 shown]
	v_add_f32_e32 v9, v10, v9
	ds_bpermute_b32 v6, v6, v5
	s_wait_dscnt 0x7
	v_cvt_f32_f16_e32 v15, v15
	s_wait_dscnt 0x6
	v_cvt_f32_f16_e32 v16, v16
	v_cvt_f32_f16_e32 v7, v7
	s_wait_dscnt 0x4
	v_cvt_f32_f16_e32 v11, v18
	;; [unrolled: 3-line block ×3, first 2 shown]
	s_wait_dscnt 0x0
	v_add_f32_e32 v5, v5, v6
	v_cvt_f32_f16_e32 v6, v14
	v_add_f32_e32 v9, v9, v11
	v_add_f32_e32 v7, v8, v7
	ds_load_u16 v8, v1 offset:4096
	ds_load_u16 v10, v1 offset:4608
	;; [unrolled: 1-line block ×8, first 2 shown]
	ds_bpermute_b32 v4, v4, v5
	v_cvt_f32_f16_e32 v19, v19
	v_dual_add_f32 v9, v9, v17 :: v_dual_add_f32 v6, v7, v6
	ds_load_u16 v7, v1 offset:7424
	ds_load_u16 v11, v1 offset:6912
	;; [unrolled: 1-line block ×4, first 2 shown]
	s_wait_dscnt 0xc
	v_cvt_f32_f16_e32 v8, v8
	s_wait_dscnt 0xb
	v_cvt_f32_f16_e32 v10, v10
	;; [unrolled: 2-line block ×4, first 2 shown]
	s_wait_dscnt 0x4
	v_add_f32_e32 v4, v5, v4
	v_add_f32_e32 v5, v9, v16
	;; [unrolled: 1-line block ×3, first 2 shown]
	v_cvt_f32_f16_e32 v12, v20
	v_cvt_f32_f16_e32 v9, v22
	s_delay_alu instid0(VALU_DEP_4) | instskip(NEXT) | instid1(VALU_DEP_4)
	v_add_f32_e32 v5, v5, v15
	v_add_f32_e32 v6, v6, v19
	ds_bpermute_b32 v3, v3, v4
	v_cvt_f32_f16_e32 v15, v21
	v_dual_add_f32 v5, v5, v9 :: v_dual_add_f32 v6, v6, v12
	ds_load_u16 v12, v1 offset:6144
	v_dual_add_f32 v5, v5, v15 :: v_dual_add_f32 v6, v6, v8
	ds_load_u16 v8, v1 offset:6656
	ds_load_u16 v9, v1 offset:7168
	ds_load_u16 v16, v1 offset:7680
	ds_load_u16 v1, v1 offset:7936
	v_dual_add_f32 v5, v5, v17 :: v_dual_add_f32 v6, v6, v10
	v_cvt_f32_f16_e32 v10, v14
	v_cvt_f32_f16_e32 v14, v23
	s_wait_dscnt 0x5
	s_delay_alu instid0(VALU_DEP_3) | instskip(NEXT) | instid1(VALU_DEP_3)
	v_dual_add_f32 v3, v4, v3 :: v_dual_add_f32 v6, v6, v13
	v_add_f32_e32 v5, v5, v10
	v_cvt_f32_f16_e32 v4, v25
	s_wait_dscnt 0x4
	v_cvt_f32_f16_e32 v10, v12
	v_add_f32_e32 v6, v6, v14
	ds_bpermute_b32 v2, v2, v3
	v_cvt_f32_f16_e32 v12, v24
	v_add_f32_e32 v4, v5, v4
	s_wait_dscnt 0x4
	v_cvt_f32_f16_e32 v5, v8
	v_add_f32_e32 v6, v6, v10
	v_cvt_f32_f16_e32 v8, v11
	s_wait_dscnt 0x3
	v_cvt_f32_f16_e32 v9, v9
	s_delay_alu instid0(VALU_DEP_3) | instskip(SKIP_3) | instid1(VALU_DEP_3)
	v_dual_add_f32 v4, v4, v12 :: v_dual_add_f32 v5, v6, v5
	v_cvt_f32_f16_e32 v6, v7
	s_wait_dscnt 0x2
	v_cvt_f32_f16_e32 v7, v16
	v_add_f32_e32 v4, v4, v8
	s_wait_dscnt 0x1
	v_cvt_f32_f16_e32 v8, v1
	s_delay_alu instid0(VALU_DEP_2) | instskip(SKIP_1) | instid1(VALU_DEP_1)
	v_dual_add_f32 v5, v5, v9 :: v_dual_add_f32 v4, v4, v6
	s_wait_dscnt 0x0
	v_dual_add_f32 v5, v5, v7 :: v_dual_add_f32 v1, v3, v2
	s_delay_alu instid0(VALU_DEP_2) | instskip(NEXT) | instid1(VALU_DEP_2)
	v_add_f32_e32 v2, v4, v8
	v_div_scale_f32 v3, null, v1, v1, v5
	s_delay_alu instid0(VALU_DEP_2) | instskip(SKIP_1) | instid1(VALU_DEP_3)
	v_div_scale_f32 v4, null, v1, v1, v2
	v_div_scale_f32 v10, vcc_lo, v5, v1, v5
	v_rcp_f32_e32 v6, v3
	s_delay_alu instid0(VALU_DEP_2) | instskip(NEXT) | instid1(TRANS32_DEP_2)
	v_rcp_f32_e32 v7, v4
	v_fma_f32 v8, -v3, v6, 1.0
	s_delay_alu instid0(TRANS32_DEP_1) | instskip(NEXT) | instid1(VALU_DEP_1)
	v_fma_f32 v9, -v4, v7, 1.0
	v_dual_fmac_f32 v7, v9, v7 :: v_dual_fmac_f32 v6, v8, v6
	v_div_scale_f32 v8, s0, v2, v1, v2
	s_delay_alu instid0(VALU_DEP_1) | instskip(NEXT) | instid1(VALU_DEP_1)
	v_dual_mul_f32 v11, v8, v7 :: v_dual_mul_f32 v9, v10, v6
	v_dual_fma_f32 v13, -v4, v11, v8 :: v_dual_fma_f32 v12, -v3, v9, v10
	s_delay_alu instid0(VALU_DEP_1) | instskip(NEXT) | instid1(VALU_DEP_1)
	v_dual_fmac_f32 v11, v13, v7 :: v_dual_fmac_f32 v9, v12, v6
	v_dual_fma_f32 v4, -v4, v11, v8 :: v_dual_fma_f32 v3, -v3, v9, v10
	s_delay_alu instid0(VALU_DEP_1)
	v_div_fmas_f32 v3, v3, v6, v9
	s_mov_b32 vcc_lo, s0
	s_wait_kmcnt 0x0
	s_mul_i32 s0, s1, s2
	v_div_fmas_f32 v4, v4, v7, v11
	s_add_co_i32 s0, s0, s40
	v_div_fixup_f32 v3, v3, v1, v5
	s_cmp_eq_u32 s1, 1
	v_lshl_or_b32 v6, s0, 8, v40
	v_div_fixup_f32 v4, v4, v1, v2
	s_cselect_b32 vcc_lo, -1, 0
	s_delay_alu instid0(VALU_DEP_1)
	v_dual_cndmask_b32 v3, v5, v3 :: v_dual_cndmask_b32 v2, v2, v4
	s_clause 0x1
	global_store_b32 v6, v3, s[16:17] scale_offset
	global_store_b32 v6, v2, s[16:17] offset:512 scale_offset
	s_load_b32 s0, s[14:15], 0x4
	v_cmp_eq_u32_e32 vcc_lo, 0, v40
	s_wait_kmcnt 0x0
	s_cmp_lg_u32 s0, 1
	s_cselect_b32 s1, -1, 0
	s_delay_alu instid0(SALU_CYCLE_1) | instskip(NEXT) | instid1(SALU_CYCLE_1)
	s_and_b32 s1, vcc_lo, s1
	s_and_saveexec_b32 s3, s1
	s_cbranch_execz .LBB23_35
; %bb.34:
	s_mul_i32 s0, s0, s2
	s_delay_alu instid0(SALU_CYCLE_1) | instskip(NEXT) | instid1(SALU_CYCLE_1)
	s_add_co_i32 s0, s0, s40
	v_mov_b32_e32 v2, s0
	global_store_b64 v2, v[0:1], s[18:19] scale_offset
.LBB23_35:
	s_sendmsg sendmsg(MSG_DEALLOC_VGPRS)
	s_endpgm
	.section	.rodata,"a",@progbits
	.p2align	6, 0x0
	.amdhsa_kernel _ZL18flash_attn_ext_vecILi256ELi1EL9ggml_type1ELS0_1ELb0EEvPKcS2_S2_S2_S2_PKiPfP15HIP_vector_typeIfLj2EEffffjfiS6_IjLj3EEiiiiiiiiiiiliiliiiiil
		.amdhsa_group_segment_fixed_size 8448
		.amdhsa_private_segment_fixed_size 0
		.amdhsa_kernarg_size 464
		.amdhsa_user_sgpr_count 2
		.amdhsa_user_sgpr_dispatch_ptr 0
		.amdhsa_user_sgpr_queue_ptr 0
		.amdhsa_user_sgpr_kernarg_segment_ptr 1
		.amdhsa_user_sgpr_dispatch_id 0
		.amdhsa_user_sgpr_kernarg_preload_length 0
		.amdhsa_user_sgpr_kernarg_preload_offset 0
		.amdhsa_user_sgpr_private_segment_size 0
		.amdhsa_wavefront_size32 1
		.amdhsa_uses_dynamic_stack 0
		.amdhsa_enable_private_segment 0
		.amdhsa_system_sgpr_workgroup_id_x 1
		.amdhsa_system_sgpr_workgroup_id_y 1
		.amdhsa_system_sgpr_workgroup_id_z 1
		.amdhsa_system_sgpr_workgroup_info 0
		.amdhsa_system_vgpr_workitem_id 1
		.amdhsa_next_free_vgpr 222
		.amdhsa_next_free_sgpr 47
		.amdhsa_named_barrier_count 0
		.amdhsa_reserve_vcc 1
		.amdhsa_float_round_mode_32 0
		.amdhsa_float_round_mode_16_64 0
		.amdhsa_float_denorm_mode_32 3
		.amdhsa_float_denorm_mode_16_64 3
		.amdhsa_fp16_overflow 0
		.amdhsa_memory_ordered 1
		.amdhsa_forward_progress 1
		.amdhsa_inst_pref_size 76
		.amdhsa_round_robin_scheduling 0
		.amdhsa_exception_fp_ieee_invalid_op 0
		.amdhsa_exception_fp_denorm_src 0
		.amdhsa_exception_fp_ieee_div_zero 0
		.amdhsa_exception_fp_ieee_overflow 0
		.amdhsa_exception_fp_ieee_underflow 0
		.amdhsa_exception_fp_ieee_inexact 0
		.amdhsa_exception_int_div_zero 0
	.end_amdhsa_kernel
	.section	.text._ZL18flash_attn_ext_vecILi256ELi1EL9ggml_type1ELS0_1ELb0EEvPKcS2_S2_S2_S2_PKiPfP15HIP_vector_typeIfLj2EEffffjfiS6_IjLj3EEiiiiiiiiiiiliiliiiiil,"axG",@progbits,_ZL18flash_attn_ext_vecILi256ELi1EL9ggml_type1ELS0_1ELb0EEvPKcS2_S2_S2_S2_PKiPfP15HIP_vector_typeIfLj2EEffffjfiS6_IjLj3EEiiiiiiiiiiiliiliiiiil,comdat
.Lfunc_end23:
	.size	_ZL18flash_attn_ext_vecILi256ELi1EL9ggml_type1ELS0_1ELb0EEvPKcS2_S2_S2_S2_PKiPfP15HIP_vector_typeIfLj2EEffffjfiS6_IjLj3EEiiiiiiiiiiiliiliiiiil, .Lfunc_end23-_ZL18flash_attn_ext_vecILi256ELi1EL9ggml_type1ELS0_1ELb0EEvPKcS2_S2_S2_S2_PKiPfP15HIP_vector_typeIfLj2EEffffjfiS6_IjLj3EEiiiiiiiiiiiliiliiiiil
                                        ; -- End function
	.set _ZL18flash_attn_ext_vecILi256ELi1EL9ggml_type1ELS0_1ELb0EEvPKcS2_S2_S2_S2_PKiPfP15HIP_vector_typeIfLj2EEffffjfiS6_IjLj3EEiiiiiiiiiiiliiliiiiil.num_vgpr, 222
	.set _ZL18flash_attn_ext_vecILi256ELi1EL9ggml_type1ELS0_1ELb0EEvPKcS2_S2_S2_S2_PKiPfP15HIP_vector_typeIfLj2EEffffjfiS6_IjLj3EEiiiiiiiiiiiliiliiiiil.num_agpr, 0
	.set _ZL18flash_attn_ext_vecILi256ELi1EL9ggml_type1ELS0_1ELb0EEvPKcS2_S2_S2_S2_PKiPfP15HIP_vector_typeIfLj2EEffffjfiS6_IjLj3EEiiiiiiiiiiiliiliiiiil.numbered_sgpr, 47
	.set _ZL18flash_attn_ext_vecILi256ELi1EL9ggml_type1ELS0_1ELb0EEvPKcS2_S2_S2_S2_PKiPfP15HIP_vector_typeIfLj2EEffffjfiS6_IjLj3EEiiiiiiiiiiiliiliiiiil.num_named_barrier, 0
	.set _ZL18flash_attn_ext_vecILi256ELi1EL9ggml_type1ELS0_1ELb0EEvPKcS2_S2_S2_S2_PKiPfP15HIP_vector_typeIfLj2EEffffjfiS6_IjLj3EEiiiiiiiiiiiliiliiiiil.private_seg_size, 0
	.set _ZL18flash_attn_ext_vecILi256ELi1EL9ggml_type1ELS0_1ELb0EEvPKcS2_S2_S2_S2_PKiPfP15HIP_vector_typeIfLj2EEffffjfiS6_IjLj3EEiiiiiiiiiiiliiliiiiil.uses_vcc, 1
	.set _ZL18flash_attn_ext_vecILi256ELi1EL9ggml_type1ELS0_1ELb0EEvPKcS2_S2_S2_S2_PKiPfP15HIP_vector_typeIfLj2EEffffjfiS6_IjLj3EEiiiiiiiiiiiliiliiiiil.uses_flat_scratch, 0
	.set _ZL18flash_attn_ext_vecILi256ELi1EL9ggml_type1ELS0_1ELb0EEvPKcS2_S2_S2_S2_PKiPfP15HIP_vector_typeIfLj2EEffffjfiS6_IjLj3EEiiiiiiiiiiiliiliiiiil.has_dyn_sized_stack, 0
	.set _ZL18flash_attn_ext_vecILi256ELi1EL9ggml_type1ELS0_1ELb0EEvPKcS2_S2_S2_S2_PKiPfP15HIP_vector_typeIfLj2EEffffjfiS6_IjLj3EEiiiiiiiiiiiliiliiiiil.has_recursion, 0
	.set _ZL18flash_attn_ext_vecILi256ELi1EL9ggml_type1ELS0_1ELb0EEvPKcS2_S2_S2_S2_PKiPfP15HIP_vector_typeIfLj2EEffffjfiS6_IjLj3EEiiiiiiiiiiiliiliiiiil.has_indirect_call, 0
	.section	.AMDGPU.csdata,"",@progbits
; Kernel info:
; codeLenInByte = 9636
; TotalNumSgprs: 49
; NumVgprs: 222
; ScratchSize: 0
; MemoryBound: 0
; FloatMode: 240
; IeeeMode: 1
; LDSByteSize: 8448 bytes/workgroup (compile time only)
; SGPRBlocks: 0
; VGPRBlocks: 13
; NumSGPRsForWavesPerEU: 49
; NumVGPRsForWavesPerEU: 222
; NamedBarCnt: 0
; Occupancy: 4
; WaveLimiterHint : 1
; COMPUTE_PGM_RSRC2:SCRATCH_EN: 0
; COMPUTE_PGM_RSRC2:USER_SGPR: 2
; COMPUTE_PGM_RSRC2:TRAP_HANDLER: 0
; COMPUTE_PGM_RSRC2:TGID_X_EN: 1
; COMPUTE_PGM_RSRC2:TGID_Y_EN: 1
; COMPUTE_PGM_RSRC2:TGID_Z_EN: 1
; COMPUTE_PGM_RSRC2:TIDIG_COMP_CNT: 1
	.section	.text._ZL33flash_attn_stream_k_fixup_uniformILi256ELi1ELi1EEvPfPK15HIP_vector_typeIfLj2EEiiiiiiS1_IjLj3EES5_S5_,"axG",@progbits,_ZL33flash_attn_stream_k_fixup_uniformILi256ELi1ELi1EEvPfPK15HIP_vector_typeIfLj2EEiiiiiiS1_IjLj3EES5_S5_,comdat
	.globl	_ZL33flash_attn_stream_k_fixup_uniformILi256ELi1ELi1EEvPfPK15HIP_vector_typeIfLj2EEiiiiiiS1_IjLj3EES5_S5_ ; -- Begin function _ZL33flash_attn_stream_k_fixup_uniformILi256ELi1ELi1EEvPfPK15HIP_vector_typeIfLj2EEiiiiiiS1_IjLj3EES5_S5_
	.p2align	8
	.type	_ZL33flash_attn_stream_k_fixup_uniformILi256ELi1ELi1EEvPfPK15HIP_vector_typeIfLj2EEiiiiiiS1_IjLj3EES5_S5_,@function
_ZL33flash_attn_stream_k_fixup_uniformILi256ELi1ELi1EEvPfPK15HIP_vector_typeIfLj2EEiiiiiiS1_IjLj3EES5_S5_: ; @_ZL33flash_attn_stream_k_fixup_uniformILi256ELi1ELi1EEvPfPK15HIP_vector_typeIfLj2EEiiiiiiS1_IjLj3EES5_S5_
; %bb.0:
	s_load_b256 s[4:11], s[0:1], 0x1c
	s_bfe_u32 s2, ttmp6, 0x40014
	s_lshr_b32 s3, ttmp7, 16
	s_add_co_i32 s2, s2, 1
	s_bfe_u32 s13, ttmp6, 0x40010
	s_mul_i32 s2, s3, s2
	s_bfe_u32 s12, ttmp6, 0x40008
	s_and_b32 s14, ttmp7, 0xffff
	s_add_co_i32 s13, s13, 1
	s_bfe_u32 s15, ttmp6, 0x4000c
	s_add_co_i32 s2, s12, s2
	s_mul_i32 s12, s14, s13
	s_bfe_u32 s13, ttmp6, 0x40004
	s_add_co_i32 s15, s15, 1
	s_add_co_i32 s13, s13, s12
	s_and_b32 s12, ttmp6, 15
	s_mul_i32 s15, ttmp9, s15
	s_getreg_b32 s20, hwreg(HW_REG_IB_STS2, 6, 4)
	s_add_co_i32 s12, s12, s15
	s_load_b128 s[16:19], s[0:1], 0x3c
	s_cmp_eq_u32 s20, 0
	s_cselect_b32 s12, ttmp9, s12
	s_cselect_b32 s13, s14, s13
	s_wait_kmcnt 0x0
	s_mul_hi_u32 s14, s7, s12
	s_cselect_b32 s7, s3, s2
	s_add_co_i32 s2, s12, s14
	s_delay_alu instid0(SALU_CYCLE_1) | instskip(NEXT) | instid1(SALU_CYCLE_1)
	s_lshr_b32 s14, s2, s8
	s_mul_i32 s2, s14, s9
	s_delay_alu instid0(SALU_CYCLE_1) | instskip(SKIP_2) | instid1(SALU_CYCLE_1)
	s_sub_co_i32 s8, s12, s2
	s_load_b64 s[2:3], s[0:1], 0x10
	s_mul_hi_u32 s9, s8, s10
	s_add_co_i32 s9, s8, s9
	s_delay_alu instid0(SALU_CYCLE_1) | instskip(NEXT) | instid1(SALU_CYCLE_1)
	s_lshr_b32 s15, s9, s11
	s_mul_i32 s9, s15, s16
	s_delay_alu instid0(SALU_CYCLE_1) | instskip(NEXT) | instid1(SALU_CYCLE_1)
	s_sub_co_i32 s8, s8, s9
	s_mul_hi_u32 s9, s8, s17
	s_delay_alu instid0(SALU_CYCLE_1) | instskip(NEXT) | instid1(SALU_CYCLE_1)
	s_add_co_i32 s9, s8, s9
	s_lshr_b32 s17, s9, s18
	s_delay_alu instid0(SALU_CYCLE_1) | instskip(NEXT) | instid1(SALU_CYCLE_1)
	s_mul_i32 s9, s17, s19
	s_sub_co_i32 s16, s8, s9
	s_delay_alu instid0(SALU_CYCLE_1) | instskip(SKIP_4) | instid1(SALU_CYCLE_1)
	s_add_co_i32 s16, s16, s13
	s_wait_kmcnt 0x0
	s_cmp_lt_i32 s16, s2
	s_cselect_b32 s8, -1, 0
	s_add_co_i32 s17, s17, s7
	s_cmp_lt_i32 s17, s5
	s_cselect_b32 s9, -1, 0
	s_delay_alu instid0(SALU_CYCLE_1) | instskip(NEXT) | instid1(SALU_CYCLE_1)
	s_and_b32 s8, s8, s9
	s_and_not1_b32 vcc_lo, exec_lo, s8
	s_cbranch_vccnz .LBB24_6
; %bb.1:
	s_load_b128 s[8:11], s[0:1], 0x0
	s_mul_i32 s14, s14, s2
	s_mul_i32 s15, s15, s5
	s_wait_xcnt 0x0
	s_add_co_i32 s0, s16, s14
	s_add_co_i32 s1, s17, s15
	s_mul_i32 s0, s0, s3
	s_mul_i32 s5, s6, s12
	s_add_co_i32 s1, s1, s0
	s_add_co_i32 s7, s13, s7
	v_lshl_or_b32 v4, s1, 8, v0
	s_add_co_i32 s6, s5, s6
	s_delay_alu instid0(SALU_CYCLE_1) | instskip(SKIP_4) | instid1(SALU_CYCLE_1)
	s_add_co_i32 s2, s7, s6
	s_add_co_i32 s12, s6, -2
	s_add_co_i32 s0, s2, -1
	v_ashrrev_i32_e32 v5, 31, v4
	s_ashr_i32 s1, s0, 31
	s_lshl_b64 s[0:1], s[0:1], 3
	s_cmp_lt_i32 s12, s5
	s_wait_kmcnt 0x0
	global_load_b32 v3, v4, s[8:9] scale_offset
	s_add_nc_u64 s[0:1], s[10:11], s[0:1]
	s_load_b32 s3, s[0:1], 0x4
	s_cbranch_scc1 .LBB24_4
; %bb.2:
	s_wait_xcnt 0x0
	s_load_b32 s0, s[0:1], 0x0
	v_lshl_or_b32 v0, s2, 8, v0
	s_lshl_b32 s12, s4, 2
	s_wait_kmcnt 0x0
	v_mov_b32_e32 v2, s3
	s_ashr_i32 s13, s12, 31
	s_add_co_i32 s1, s6, -1
	v_add_nc_u32_e32 v0, 0xfffffe00, v0
	s_lshl_b64 s[12:13], s[12:13], 2
	s_add_co_i32 s4, s7, s4
	s_add_nc_u64 s[2:3], s[10:11], s[12:13]
.LBB24_3:                               ; =>This Inner Loop Header: Depth=1
	global_load_b32 v7, v0, s[2:3] scale_offset
	s_add_co_i32 s1, s1, -1
	v_max_num_f32_e64 v1, s0, s0
	s_add_co_i32 s6, s1, s4
	s_delay_alu instid0(SALU_CYCLE_1) | instskip(NEXT) | instid1(SALU_CYCLE_1)
	s_ashr_i32 s7, s6, 31
	s_lshl_b64 s[6:7], s[6:7], 3
	s_delay_alu instid0(VALU_DEP_1)
	v_readfirstlane_b32 s12, v1
	s_add_nc_u64 s[6:7], s[10:11], s[6:7]
	s_load_b64 s[6:7], s[6:7], 0x0
	v_add_nc_u32_e32 v0, 0xffffff00, v0
	s_wait_kmcnt 0x0
	v_max_num_f32_e64 v1, s6, s6
	s_delay_alu instid0(VALU_DEP_1) | instskip(SKIP_1) | instid1(SALU_CYCLE_3)
	v_readfirstlane_b32 s13, v1
	s_max_num_f32 s12, s12, s13
	s_sub_f32 s0, s0, s12
	s_sub_f32 s6, s6, s12
	s_delay_alu instid0(SALU_CYCLE_2) | instskip(NEXT) | instid1(SALU_CYCLE_2)
	s_mul_f32 s13, s0, 0x3fb8aa3b
	s_mul_f32 s14, s6, 0x3fb8aa3b
	s_delay_alu instid0(SALU_CYCLE_2)
	s_xor_b32 s15, s13, 0x80000000
	s_rndne_f32 s16, s13
	s_fmamk_f32 s15, s0, 0x3fb8aa3b, s15
	s_cmp_nlt_f32 s0, 0xc2ce8ed0
	s_rndne_f32 s17, s14
	s_sub_f32 s13, s13, s16
	s_fmamk_f32 s15, s0, 0x32a5705f, s15
	s_cselect_b32 vcc_lo, -1, 0
	s_cmp_ngt_f32 s0, 0x42b17218
	s_delay_alu instid0(SALU_CYCLE_1) | instskip(SKIP_2) | instid1(SALU_CYCLE_1)
	s_add_f32 s13, s13, s15
	s_cvt_i32_f32 s15, s16
	s_sub_f32 s16, s14, s17
	v_s_exp_f32 s13, s13
	v_nop
	s_delay_alu instid0(TRANS32_DEP_1) | instskip(SKIP_1) | instid1(VALU_DEP_1)
	v_ldexp_f32 v1, s13, s15
	s_cvt_i32_f32 s13, s17
	v_cndmask_b32_e32 v1, 0, v1, vcc_lo
	s_cselect_b32 vcc_lo, -1, 0
	s_cmp_ge_f32 s0, 0xc1a00000
	s_delay_alu instid0(VALU_DEP_1)
	v_cndmask_b32_e32 v1, 0x7f800000, v1, vcc_lo
	s_cselect_b32 vcc_lo, -1, 0
	s_xor_b32 s0, s14, 0x80000000
	s_cmp_nlt_f32 s6, 0xc2ce8ed0
	s_fmamk_f32 s0, s6, 0x3fb8aa3b, s0
	v_cndmask_b32_e32 v10, 0, v1, vcc_lo
	s_delay_alu instid0(SALU_CYCLE_2) | instskip(NEXT) | instid1(SALU_CYCLE_3)
	s_fmamk_f32 s0, s6, 0x32a5705f, s0
	s_add_f32 s0, s16, s0
	s_delay_alu instid0(SALU_CYCLE_3) | instskip(SKIP_1) | instid1(TRANS32_DEP_1)
	v_s_exp_f32 s0, s0
	v_nop
	v_ldexp_f32 v6, s0, s13
	s_cselect_b32 s0, -1, 0
	s_cmp_ngt_f32 s6, 0x42b17218
	s_delay_alu instid0(VALU_DEP_1) | instskip(SKIP_2) | instid1(VALU_DEP_1)
	v_cndmask_b32_e64 v6, 0, v6, s0
	s_cselect_b32 s0, -1, 0
	s_cmp_ge_f32 s6, 0xc1a00000
	v_cndmask_b32_e64 v8, 0x7f800000, v6, s0
	s_cselect_b32 s0, -1, 0
	v_mov_b32_e32 v6, s7
	s_cmp_le_i32 s1, s5
	s_delay_alu instid0(VALU_DEP_2) | instskip(SKIP_2) | instid1(VALU_DEP_1)
	v_cndmask_b32_e64 v8, 0, v8, s0
	s_mov_b32 s0, s12
	s_wait_loadcnt 0x0
	v_pk_mul_f32 v[6:7], v[6:7], v[8:9] op_sel_hi:[1,0]
	s_delay_alu instid0(VALU_DEP_1)
	v_pk_fma_f32 v[2:3], v[2:3], v[10:11], v[6:7] op_sel_hi:[1,0,1]
	s_cbranch_scc0 .LBB24_3
	s_branch .LBB24_5
.LBB24_4:
	s_wait_kmcnt 0x0
	v_mov_b32_e32 v2, s3
.LBB24_5:
	v_lshl_add_u64 v[0:1], v[4:5], 2, s[8:9]
	s_wait_loadcnt 0x0
	s_delay_alu instid0(VALU_DEP_2) | instskip(NEXT) | instid1(VALU_DEP_1)
	v_div_scale_f32 v4, null, v2, v2, v3
	v_rcp_f32_e32 v5, v4
	v_nop
	s_delay_alu instid0(TRANS32_DEP_1) | instskip(NEXT) | instid1(VALU_DEP_1)
	v_fma_f32 v6, -v4, v5, 1.0
	v_fmac_f32_e32 v5, v6, v5
	v_div_scale_f32 v6, vcc_lo, v3, v2, v3
	s_delay_alu instid0(VALU_DEP_1) | instskip(NEXT) | instid1(VALU_DEP_1)
	v_mul_f32_e32 v7, v6, v5
	v_fma_f32 v8, -v4, v7, v6
	s_delay_alu instid0(VALU_DEP_1) | instskip(NEXT) | instid1(VALU_DEP_1)
	v_fmac_f32_e32 v7, v8, v5
	v_fma_f32 v4, -v4, v7, v6
	s_delay_alu instid0(VALU_DEP_1) | instskip(NEXT) | instid1(VALU_DEP_1)
	v_div_fmas_f32 v4, v4, v5, v7
	v_div_fixup_f32 v2, v4, v2, v3
	global_store_b32 v[0:1], v2, off
.LBB24_6:
	s_endpgm
	.section	.rodata,"a",@progbits
	.p2align	6, 0x0
	.amdhsa_kernel _ZL33flash_attn_stream_k_fixup_uniformILi256ELi1ELi1EEvPfPK15HIP_vector_typeIfLj2EEiiiiiiS1_IjLj3EES5_S5_
		.amdhsa_group_segment_fixed_size 0
		.amdhsa_private_segment_fixed_size 0
		.amdhsa_kernarg_size 76
		.amdhsa_user_sgpr_count 2
		.amdhsa_user_sgpr_dispatch_ptr 0
		.amdhsa_user_sgpr_queue_ptr 0
		.amdhsa_user_sgpr_kernarg_segment_ptr 1
		.amdhsa_user_sgpr_dispatch_id 0
		.amdhsa_user_sgpr_kernarg_preload_length 0
		.amdhsa_user_sgpr_kernarg_preload_offset 0
		.amdhsa_user_sgpr_private_segment_size 0
		.amdhsa_wavefront_size32 1
		.amdhsa_uses_dynamic_stack 0
		.amdhsa_enable_private_segment 0
		.amdhsa_system_sgpr_workgroup_id_x 1
		.amdhsa_system_sgpr_workgroup_id_y 1
		.amdhsa_system_sgpr_workgroup_id_z 1
		.amdhsa_system_sgpr_workgroup_info 0
		.amdhsa_system_vgpr_workitem_id 0
		.amdhsa_next_free_vgpr 12
		.amdhsa_next_free_sgpr 21
		.amdhsa_named_barrier_count 0
		.amdhsa_reserve_vcc 1
		.amdhsa_float_round_mode_32 0
		.amdhsa_float_round_mode_16_64 0
		.amdhsa_float_denorm_mode_32 3
		.amdhsa_float_denorm_mode_16_64 3
		.amdhsa_fp16_overflow 0
		.amdhsa_memory_ordered 1
		.amdhsa_forward_progress 1
		.amdhsa_inst_pref_size 8
		.amdhsa_round_robin_scheduling 0
		.amdhsa_exception_fp_ieee_invalid_op 0
		.amdhsa_exception_fp_denorm_src 0
		.amdhsa_exception_fp_ieee_div_zero 0
		.amdhsa_exception_fp_ieee_overflow 0
		.amdhsa_exception_fp_ieee_underflow 0
		.amdhsa_exception_fp_ieee_inexact 0
		.amdhsa_exception_int_div_zero 0
	.end_amdhsa_kernel
	.section	.text._ZL33flash_attn_stream_k_fixup_uniformILi256ELi1ELi1EEvPfPK15HIP_vector_typeIfLj2EEiiiiiiS1_IjLj3EES5_S5_,"axG",@progbits,_ZL33flash_attn_stream_k_fixup_uniformILi256ELi1ELi1EEvPfPK15HIP_vector_typeIfLj2EEiiiiiiS1_IjLj3EES5_S5_,comdat
.Lfunc_end24:
	.size	_ZL33flash_attn_stream_k_fixup_uniformILi256ELi1ELi1EEvPfPK15HIP_vector_typeIfLj2EEiiiiiiS1_IjLj3EES5_S5_, .Lfunc_end24-_ZL33flash_attn_stream_k_fixup_uniformILi256ELi1ELi1EEvPfPK15HIP_vector_typeIfLj2EEiiiiiiS1_IjLj3EES5_S5_
                                        ; -- End function
	.set _ZL33flash_attn_stream_k_fixup_uniformILi256ELi1ELi1EEvPfPK15HIP_vector_typeIfLj2EEiiiiiiS1_IjLj3EES5_S5_.num_vgpr, 12
	.set _ZL33flash_attn_stream_k_fixup_uniformILi256ELi1ELi1EEvPfPK15HIP_vector_typeIfLj2EEiiiiiiS1_IjLj3EES5_S5_.num_agpr, 0
	.set _ZL33flash_attn_stream_k_fixup_uniformILi256ELi1ELi1EEvPfPK15HIP_vector_typeIfLj2EEiiiiiiS1_IjLj3EES5_S5_.numbered_sgpr, 21
	.set _ZL33flash_attn_stream_k_fixup_uniformILi256ELi1ELi1EEvPfPK15HIP_vector_typeIfLj2EEiiiiiiS1_IjLj3EES5_S5_.num_named_barrier, 0
	.set _ZL33flash_attn_stream_k_fixup_uniformILi256ELi1ELi1EEvPfPK15HIP_vector_typeIfLj2EEiiiiiiS1_IjLj3EES5_S5_.private_seg_size, 0
	.set _ZL33flash_attn_stream_k_fixup_uniformILi256ELi1ELi1EEvPfPK15HIP_vector_typeIfLj2EEiiiiiiS1_IjLj3EES5_S5_.uses_vcc, 1
	.set _ZL33flash_attn_stream_k_fixup_uniformILi256ELi1ELi1EEvPfPK15HIP_vector_typeIfLj2EEiiiiiiS1_IjLj3EES5_S5_.uses_flat_scratch, 0
	.set _ZL33flash_attn_stream_k_fixup_uniformILi256ELi1ELi1EEvPfPK15HIP_vector_typeIfLj2EEiiiiiiS1_IjLj3EES5_S5_.has_dyn_sized_stack, 0
	.set _ZL33flash_attn_stream_k_fixup_uniformILi256ELi1ELi1EEvPfPK15HIP_vector_typeIfLj2EEiiiiiiS1_IjLj3EES5_S5_.has_recursion, 0
	.set _ZL33flash_attn_stream_k_fixup_uniformILi256ELi1ELi1EEvPfPK15HIP_vector_typeIfLj2EEiiiiiiS1_IjLj3EES5_S5_.has_indirect_call, 0
	.section	.AMDGPU.csdata,"",@progbits
; Kernel info:
; codeLenInByte = 1016
; TotalNumSgprs: 23
; NumVgprs: 12
; ScratchSize: 0
; MemoryBound: 0
; FloatMode: 240
; IeeeMode: 1
; LDSByteSize: 0 bytes/workgroup (compile time only)
; SGPRBlocks: 0
; VGPRBlocks: 0
; NumSGPRsForWavesPerEU: 23
; NumVGPRsForWavesPerEU: 12
; NamedBarCnt: 0
; Occupancy: 16
; WaveLimiterHint : 0
; COMPUTE_PGM_RSRC2:SCRATCH_EN: 0
; COMPUTE_PGM_RSRC2:USER_SGPR: 2
; COMPUTE_PGM_RSRC2:TRAP_HANDLER: 0
; COMPUTE_PGM_RSRC2:TGID_X_EN: 1
; COMPUTE_PGM_RSRC2:TGID_Y_EN: 1
; COMPUTE_PGM_RSRC2:TGID_Z_EN: 1
; COMPUTE_PGM_RSRC2:TIDIG_COMP_CNT: 0
	.section	.text._ZL33flash_attn_stream_k_fixup_generalILi256ELi1ELi1EEvPfPK15HIP_vector_typeIfLj2EEiiiiS1_IjLj3EES5_S5_S5_,"axG",@progbits,_ZL33flash_attn_stream_k_fixup_generalILi256ELi1ELi1EEvPfPK15HIP_vector_typeIfLj2EEiiiiS1_IjLj3EES5_S5_S5_,comdat
	.globl	_ZL33flash_attn_stream_k_fixup_generalILi256ELi1ELi1EEvPfPK15HIP_vector_typeIfLj2EEiiiiS1_IjLj3EES5_S5_S5_ ; -- Begin function _ZL33flash_attn_stream_k_fixup_generalILi256ELi1ELi1EEvPfPK15HIP_vector_typeIfLj2EEiiiiS1_IjLj3EES5_S5_S5_
	.p2align	8
	.type	_ZL33flash_attn_stream_k_fixup_generalILi256ELi1ELi1EEvPfPK15HIP_vector_typeIfLj2EEiiiiS1_IjLj3EES5_S5_S5_,@function
_ZL33flash_attn_stream_k_fixup_generalILi256ELi1ELi1EEvPfPK15HIP_vector_typeIfLj2EEiiiiS1_IjLj3EES5_S5_S5_: ; @_ZL33flash_attn_stream_k_fixup_generalILi256ELi1ELi1EEvPfPK15HIP_vector_typeIfLj2EEiiiiS1_IjLj3EES5_S5_S5_
; %bb.0:
	s_clause 0x1
	s_load_b128 s[4:7], s[0:1], 0x10
	s_load_b32 s16, s[0:1], 0x50
	s_bfe_u32 s2, ttmp6, 0x4000c
	s_and_b32 s3, ttmp6, 15
	s_add_co_i32 s2, s2, 1
	s_getreg_b32 s15, hwreg(HW_REG_IB_STS2, 6, 4)
	s_mul_i32 s2, ttmp9, s2
	s_mov_b32 s17, 0
	s_add_co_i32 s3, s3, s2
	s_cmp_eq_u32 s15, 0
	s_cselect_b32 s2, ttmp9, s3
	s_delay_alu instid0(SALU_CYCLE_1) | instskip(SKIP_3) | instid1(SALU_CYCLE_1)
	s_ashr_i32 s3, s2, 31
	s_wait_kmcnt 0x0
	s_ashr_i32 s19, s7, 31
	s_mov_b32 s18, s7
	s_mul_u64 s[8:9], s[18:19], s[2:3]
	s_delay_alu instid0(SALU_CYCLE_1) | instskip(NEXT) | instid1(SALU_CYCLE_1)
	s_and_b64 s[10:11], s[8:9], 0xffffffff00000000
	s_cmp_lg_u64 s[10:11], 0
	s_cbranch_scc0 .LBB25_21
; %bb.1:
	s_add_nc_u64 s[10:11], s[16:17], 0
	s_mov_b32 s23, s17
	s_xor_b64 s[10:11], s[10:11], 0
	s_mov_b32 s27, s17
	s_cvt_f32_u32 s3, s10
	s_cvt_f32_u32 s7, s11
	s_sub_nc_u64 s[20:21], 0, s[10:11]
	s_delay_alu instid0(SALU_CYCLE_2) | instskip(NEXT) | instid1(SALU_CYCLE_3)
	s_fmamk_f32 s3, s7, 0x4f800000, s3
	v_s_rcp_f32 s3, s3
	s_delay_alu instid0(TRANS32_DEP_1) | instskip(NEXT) | instid1(SALU_CYCLE_3)
	s_mul_f32 s3, s3, 0x5f7ffffc
	s_mul_f32 s7, s3, 0x2f800000
	s_delay_alu instid0(SALU_CYCLE_3) | instskip(NEXT) | instid1(SALU_CYCLE_3)
	s_trunc_f32 s7, s7
	s_fmamk_f32 s3, s7, 0xcf800000, s3
	s_cvt_u32_f32 s13, s7
	s_delay_alu instid0(SALU_CYCLE_2) | instskip(NEXT) | instid1(SALU_CYCLE_3)
	s_cvt_u32_f32 s12, s3
	s_mul_u64 s[24:25], s[20:21], s[12:13]
	s_delay_alu instid0(SALU_CYCLE_1)
	s_mul_hi_u32 s29, s12, s25
	s_mul_i32 s28, s12, s25
	s_mul_hi_u32 s22, s12, s24
	s_mul_i32 s7, s13, s24
	s_add_nc_u64 s[22:23], s[22:23], s[28:29]
	s_mul_hi_u32 s3, s13, s24
	s_mul_hi_u32 s14, s13, s25
	s_add_co_u32 s7, s22, s7
	s_add_co_ci_u32 s26, s23, s3
	s_mul_i32 s24, s13, s25
	s_add_co_ci_u32 s25, s14, 0
	s_delay_alu instid0(SALU_CYCLE_1) | instskip(SKIP_3) | instid1(SALU_CYCLE_1)
	s_add_nc_u64 s[22:23], s[26:27], s[24:25]
	s_mov_b32 s25, s17
	s_add_co_u32 s12, s12, s22
	s_cselect_b32 s3, -1, 0
	s_cmp_lg_u32 s3, 0
	s_add_co_ci_u32 s13, s13, s23
	s_mov_b32 s23, s17
	s_mul_u64 s[20:21], s[20:21], s[12:13]
	s_delay_alu instid0(SALU_CYCLE_1)
	s_mul_hi_u32 s27, s12, s21
	s_mul_i32 s26, s12, s21
	s_mul_hi_u32 s22, s12, s20
	s_mul_i32 s7, s13, s20
	s_add_nc_u64 s[22:23], s[22:23], s[26:27]
	s_mul_hi_u32 s3, s13, s20
	s_mul_hi_u32 s14, s13, s21
	s_add_co_u32 s7, s22, s7
	s_add_co_ci_u32 s24, s23, s3
	s_mul_i32 s20, s13, s21
	s_add_co_ci_u32 s21, s14, 0
	s_mov_b32 s23, s17
	s_add_nc_u64 s[20:21], s[24:25], s[20:21]
	s_delay_alu instid0(SALU_CYCLE_1) | instskip(SKIP_1) | instid1(SALU_CYCLE_1)
	s_add_co_u32 s3, s12, s20
	s_cselect_b32 s7, -1, 0
	s_cmp_lg_u32 s7, 0
	s_add_co_ci_u32 s7, s13, s21
	s_ashr_i32 s12, s9, 31
	s_delay_alu instid0(SALU_CYCLE_1) | instskip(NEXT) | instid1(SALU_CYCLE_1)
	s_mov_b32 s13, s12
	s_add_nc_u64 s[20:21], s[8:9], s[12:13]
	s_delay_alu instid0(SALU_CYCLE_1) | instskip(NEXT) | instid1(SALU_CYCLE_1)
	s_xor_b64 s[20:21], s[20:21], s[12:13]
	s_mul_hi_u32 s27, s20, s7
	s_mul_i32 s26, s20, s7
	s_mul_hi_u32 s22, s20, s3
	s_mul_hi_u32 s14, s21, s3
	s_mul_i32 s3, s21, s3
	s_add_nc_u64 s[22:23], s[22:23], s[26:27]
	s_mul_hi_u32 s9, s21, s7
	s_add_co_u32 s3, s22, s3
	s_add_co_ci_u32 s24, s23, s14
	s_mul_i32 s26, s21, s7
	s_add_co_ci_u32 s27, s9, 0
	s_delay_alu instid0(SALU_CYCLE_1) | instskip(NEXT) | instid1(SALU_CYCLE_1)
	s_add_nc_u64 s[22:23], s[24:25], s[26:27]
	s_and_b64 s[24:25], s[22:23], 0xffffffff00000000
	s_delay_alu instid0(SALU_CYCLE_1) | instskip(NEXT) | instid1(SALU_CYCLE_1)
	s_or_b32 s24, s24, s22
	s_mul_u64 s[22:23], s[10:11], s[24:25]
	s_add_nc_u64 s[26:27], s[24:25], 1
	s_sub_co_u32 s3, s20, s22
	s_cselect_b32 s7, -1, 0
	s_sub_co_i32 s9, s21, s23
	s_cmp_lg_u32 s7, 0
	s_add_nc_u64 s[28:29], s[24:25], 2
	s_sub_co_ci_u32 s9, s9, s11
	s_sub_co_u32 s14, s3, s10
	s_cselect_b32 s20, -1, 0
	s_delay_alu instid0(SALU_CYCLE_1) | instskip(SKIP_1) | instid1(SALU_CYCLE_1)
	s_cmp_lg_u32 s20, 0
	s_sub_co_ci_u32 s9, s9, 0
	s_cmp_ge_u32 s9, s11
	s_cselect_b32 s20, -1, 0
	s_cmp_ge_u32 s14, s10
	s_cselect_b32 s14, -1, 0
	s_cmp_eq_u32 s9, s11
	s_cselect_b32 s9, s14, s20
	s_delay_alu instid0(SALU_CYCLE_1) | instskip(SKIP_4) | instid1(SALU_CYCLE_1)
	s_cmp_lg_u32 s9, 0
	s_cselect_b32 s9, s28, s26
	s_cselect_b32 s14, s29, s27
	s_cmp_lg_u32 s7, 0
	s_sub_co_ci_u32 s7, s21, s23
	s_cmp_ge_u32 s7, s11
	s_cselect_b32 s20, -1, 0
	s_cmp_ge_u32 s3, s10
	s_cselect_b32 s3, -1, 0
	s_cmp_eq_u32 s7, s11
	s_cselect_b32 s3, s3, s20
	s_delay_alu instid0(SALU_CYCLE_1) | instskip(SKIP_4) | instid1(SALU_CYCLE_1)
	s_cmp_lg_u32 s3, 0
	s_mov_b32 s3, s17
	s_cselect_b32 s11, s14, s25
	s_cselect_b32 s10, s9, s24
	s_xor_b64 s[12:13], s[12:13], 0
	s_xor_b64 s[10:11], s[10:11], s[12:13]
	s_delay_alu instid0(SALU_CYCLE_1)
	s_sub_nc_u64 s[20:21], s[10:11], s[12:13]
	s_and_not1_b32 vcc_lo, exec_lo, s3
	s_cbranch_vccnz .LBB25_3
.LBB25_2:
	v_cvt_f32_u32_e32 v1, s16
	s_sub_co_i32 s7, 0, s16
	s_mov_b32 s21, 0
	s_delay_alu instid0(VALU_DEP_1) | instskip(SKIP_1) | instid1(TRANS32_DEP_1)
	v_rcp_iflag_f32_e32 v1, v1
	v_nop
	v_mul_f32_e32 v1, 0x4f7ffffe, v1
	s_delay_alu instid0(VALU_DEP_1) | instskip(NEXT) | instid1(VALU_DEP_1)
	v_cvt_u32_f32_e32 v1, v1
	v_readfirstlane_b32 s3, v1
	s_mul_i32 s7, s7, s3
	s_delay_alu instid0(SALU_CYCLE_1) | instskip(NEXT) | instid1(SALU_CYCLE_1)
	s_mul_hi_u32 s7, s3, s7
	s_add_co_i32 s3, s3, s7
	s_delay_alu instid0(SALU_CYCLE_1) | instskip(NEXT) | instid1(SALU_CYCLE_1)
	s_mul_hi_u32 s3, s8, s3
	s_mul_i32 s7, s3, s16
	s_delay_alu instid0(SALU_CYCLE_1)
	s_sub_co_i32 s7, s8, s7
	s_add_co_i32 s8, s3, 1
	s_sub_co_i32 s9, s7, s16
	s_cmp_ge_u32 s7, s16
	s_cselect_b32 s3, s8, s3
	s_cselect_b32 s7, s9, s7
	s_add_co_i32 s8, s3, 1
	s_cmp_ge_u32 s7, s16
	s_cselect_b32 s20, s8, s3
.LBB25_3:
	s_add_co_i32 s8, s2, 1
	s_delay_alu instid0(SALU_CYCLE_1) | instskip(NEXT) | instid1(SALU_CYCLE_1)
	s_ashr_i32 s9, s8, 31
	s_mul_u64 s[8:9], s[18:19], s[8:9]
	s_delay_alu instid0(SALU_CYCLE_1) | instskip(NEXT) | instid1(SALU_CYCLE_1)
	s_and_b64 s[10:11], s[8:9], 0xffffffff00000000
	s_cmp_lg_u64 s[10:11], 0
	s_cbranch_scc0 .LBB25_22
; %bb.4:
	s_add_nc_u64 s[10:11], s[16:17], 0
	s_delay_alu instid0(SALU_CYCLE_1) | instskip(SKIP_4) | instid1(SALU_CYCLE_2)
	s_xor_b64 s[12:13], s[10:11], 0
	s_mov_b32 s11, 0
	s_cvt_f32_u32 s3, s12
	s_cvt_f32_u32 s7, s13
	s_sub_nc_u64 s[24:25], 0, s[12:13]
	s_fmamk_f32 s3, s7, 0x4f800000, s3
	s_delay_alu instid0(SALU_CYCLE_3) | instskip(NEXT) | instid1(TRANS32_DEP_1)
	v_s_rcp_f32 s3, s3
	s_mul_f32 s3, s3, 0x5f7ffffc
	s_delay_alu instid0(SALU_CYCLE_3) | instskip(NEXT) | instid1(SALU_CYCLE_3)
	s_mul_f32 s7, s3, 0x2f800000
	s_trunc_f32 s7, s7
	s_delay_alu instid0(SALU_CYCLE_3) | instskip(SKIP_1) | instid1(SALU_CYCLE_2)
	s_fmamk_f32 s3, s7, 0xcf800000, s3
	s_cvt_u32_f32 s23, s7
	s_cvt_u32_f32 s22, s3
	s_delay_alu instid0(SALU_CYCLE_3) | instskip(NEXT) | instid1(SALU_CYCLE_1)
	s_mul_u64 s[26:27], s[24:25], s[22:23]
	s_mul_hi_u32 s29, s22, s27
	s_mul_i32 s28, s22, s27
	s_mul_hi_u32 s10, s22, s26
	s_mul_i32 s7, s23, s26
	s_add_nc_u64 s[28:29], s[10:11], s[28:29]
	s_mul_hi_u32 s3, s23, s26
	s_mul_hi_u32 s14, s23, s27
	s_add_co_u32 s7, s28, s7
	s_add_co_ci_u32 s10, s29, s3
	s_mul_i32 s26, s23, s27
	s_add_co_ci_u32 s27, s14, 0
	s_delay_alu instid0(SALU_CYCLE_1) | instskip(NEXT) | instid1(SALU_CYCLE_1)
	s_add_nc_u64 s[26:27], s[10:11], s[26:27]
	s_add_co_u32 s22, s22, s26
	s_cselect_b32 s3, -1, 0
	s_delay_alu instid0(SALU_CYCLE_1) | instskip(SKIP_1) | instid1(SALU_CYCLE_1)
	s_cmp_lg_u32 s3, 0
	s_add_co_ci_u32 s23, s23, s27
	s_mul_u64 s[24:25], s[24:25], s[22:23]
	s_delay_alu instid0(SALU_CYCLE_1)
	s_mul_hi_u32 s27, s22, s25
	s_mul_i32 s26, s22, s25
	s_mul_hi_u32 s10, s22, s24
	s_mul_i32 s7, s23, s24
	s_add_nc_u64 s[26:27], s[10:11], s[26:27]
	s_mul_hi_u32 s3, s23, s24
	s_mul_hi_u32 s14, s23, s25
	s_add_co_u32 s7, s26, s7
	s_add_co_ci_u32 s10, s27, s3
	s_mul_i32 s24, s23, s25
	s_add_co_ci_u32 s25, s14, 0
	s_delay_alu instid0(SALU_CYCLE_1) | instskip(NEXT) | instid1(SALU_CYCLE_1)
	s_add_nc_u64 s[24:25], s[10:11], s[24:25]
	s_add_co_u32 s3, s22, s24
	s_cselect_b32 s7, -1, 0
	s_delay_alu instid0(SALU_CYCLE_1) | instskip(SKIP_2) | instid1(SALU_CYCLE_1)
	s_cmp_lg_u32 s7, 0
	s_add_co_ci_u32 s7, s23, s25
	s_ashr_i32 s22, s9, 31
	s_mov_b32 s23, s22
	s_delay_alu instid0(SALU_CYCLE_1) | instskip(NEXT) | instid1(SALU_CYCLE_1)
	s_add_nc_u64 s[24:25], s[8:9], s[22:23]
	s_xor_b64 s[24:25], s[24:25], s[22:23]
	s_delay_alu instid0(SALU_CYCLE_1)
	s_mul_hi_u32 s27, s24, s7
	s_mul_i32 s26, s24, s7
	s_mul_hi_u32 s10, s24, s3
	s_mul_hi_u32 s14, s25, s3
	s_mul_i32 s3, s25, s3
	s_add_nc_u64 s[26:27], s[10:11], s[26:27]
	s_mul_hi_u32 s9, s25, s7
	s_add_co_u32 s3, s26, s3
	s_add_co_ci_u32 s10, s27, s14
	s_mul_i32 s28, s25, s7
	s_add_co_ci_u32 s29, s9, 0
	s_delay_alu instid0(SALU_CYCLE_1) | instskip(NEXT) | instid1(SALU_CYCLE_1)
	s_add_nc_u64 s[26:27], s[10:11], s[28:29]
	s_and_b64 s[28:29], s[26:27], 0xffffffff00000000
	s_delay_alu instid0(SALU_CYCLE_1) | instskip(NEXT) | instid1(SALU_CYCLE_1)
	s_or_b32 s28, s28, s26
	s_mul_u64 s[26:27], s[12:13], s[28:29]
	s_add_nc_u64 s[30:31], s[28:29], 1
	s_sub_co_u32 s3, s24, s26
	s_cselect_b32 s7, -1, 0
	s_sub_co_i32 s9, s25, s27
	s_cmp_lg_u32 s7, 0
	s_add_nc_u64 s[34:35], s[28:29], 2
	s_sub_co_ci_u32 s9, s9, s13
	s_sub_co_u32 s10, s3, s12
	s_cselect_b32 s14, -1, 0
	s_delay_alu instid0(SALU_CYCLE_1) | instskip(SKIP_1) | instid1(SALU_CYCLE_1)
	s_cmp_lg_u32 s14, 0
	s_sub_co_ci_u32 s9, s9, 0
	s_cmp_ge_u32 s9, s13
	s_cselect_b32 s14, -1, 0
	s_cmp_ge_u32 s10, s12
	s_cselect_b32 s10, -1, 0
	s_cmp_eq_u32 s9, s13
	s_cselect_b32 s9, s10, s14
	s_delay_alu instid0(SALU_CYCLE_1) | instskip(SKIP_4) | instid1(SALU_CYCLE_1)
	s_cmp_lg_u32 s9, 0
	s_cselect_b32 s9, s34, s30
	s_cselect_b32 s10, s35, s31
	s_cmp_lg_u32 s7, 0
	s_sub_co_ci_u32 s7, s25, s27
	s_cmp_ge_u32 s7, s13
	s_cselect_b32 s14, -1, 0
	s_cmp_ge_u32 s3, s12
	s_cselect_b32 s3, -1, 0
	s_cmp_eq_u32 s7, s13
	s_cselect_b32 s3, s3, s14
	s_delay_alu instid0(SALU_CYCLE_1) | instskip(SKIP_3) | instid1(SALU_CYCLE_1)
	s_cmp_lg_u32 s3, 0
	s_cselect_b32 s13, s10, s29
	s_cselect_b32 s12, s9, s28
	s_xor_b64 s[22:23], s[22:23], 0
	s_xor_b64 s[12:13], s[12:13], s[22:23]
	s_delay_alu instid0(SALU_CYCLE_1)
	s_sub_nc_u64 s[24:25], s[12:13], s[22:23]
	s_load_b96 s[12:14], s[0:1], 0x44
	s_cbranch_execnz .LBB25_6
.LBB25_5:
	v_cvt_f32_u32_e32 v1, s16
	s_sub_co_i32 s7, 0, s16
	s_delay_alu instid0(VALU_DEP_1) | instskip(SKIP_1) | instid1(TRANS32_DEP_1)
	v_rcp_iflag_f32_e32 v1, v1
	v_nop
	v_mul_f32_e32 v1, 0x4f7ffffe, v1
	s_delay_alu instid0(VALU_DEP_1) | instskip(NEXT) | instid1(VALU_DEP_1)
	v_cvt_u32_f32_e32 v1, v1
	v_readfirstlane_b32 s3, v1
	s_mul_i32 s7, s7, s3
	s_delay_alu instid0(SALU_CYCLE_1) | instskip(NEXT) | instid1(SALU_CYCLE_1)
	s_mul_hi_u32 s7, s3, s7
	s_add_co_i32 s3, s3, s7
	s_delay_alu instid0(SALU_CYCLE_1) | instskip(NEXT) | instid1(SALU_CYCLE_1)
	s_mul_hi_u32 s3, s8, s3
	s_mul_i32 s7, s3, s16
	s_delay_alu instid0(SALU_CYCLE_1)
	s_sub_co_i32 s7, s8, s7
	s_add_co_i32 s8, s3, 1
	s_sub_co_i32 s9, s7, s16
	s_cmp_ge_u32 s7, s16
	s_cselect_b32 s3, s8, s3
	s_cselect_b32 s7, s9, s7
	s_add_co_i32 s8, s3, 1
	s_cmp_ge_u32 s7, s16
	s_cselect_b32 s24, s8, s3
.LBB25_6:
	s_delay_alu instid0(SALU_CYCLE_1)
	s_cmp_eq_u32 s20, s24
	s_mov_b64 s[8:9], 0xffffffff
	s_cselect_b32 s3, -1, 0
	s_and_b64 s[8:9], s[20:21], s[8:9]
	s_mov_b32 s23, 0
	s_wait_kmcnt 0x0
	s_mov_b32 s22, s12
	s_mov_b32 s25, s23
	s_mul_u64 s[10:11], s[8:9], s[22:23]
	s_delay_alu instid0(SALU_CYCLE_1) | instskip(SKIP_2) | instid1(SALU_CYCLE_1)
	s_add_co_i32 s7, s11, s20
	s_mul_u64 s[10:11], s[24:25], s[22:23]
	s_lshr_b32 s12, s7, s13
	s_mul_i32 s7, s12, s14
	s_delay_alu instid0(SALU_CYCLE_1) | instskip(SKIP_2) | instid1(SALU_CYCLE_1)
	s_cmp_eq_u32 s7, s20
	s_cselect_b32 s7, -1, 0
	s_add_co_i32 s10, s11, s24
	s_lshr_b32 s10, s10, s13
	s_delay_alu instid0(SALU_CYCLE_1)
	s_cmp_eq_u32 s12, s10
	s_mul_i32 s10, s10, s14
	s_cselect_b32 s11, -1, 0
	s_cmp_lg_u32 s10, s24
	s_cselect_b32 s10, -1, 0
	s_or_b32 s3, s3, s7
	s_and_b32 s10, s11, s10
	s_delay_alu instid0(SALU_CYCLE_1) | instskip(NEXT) | instid1(SALU_CYCLE_1)
	s_or_b32 s3, s3, s10
	s_and_b32 vcc_lo, exec_lo, s3
	s_cbranch_vccnz .LBB25_24
; %bb.7:
	s_load_b256 s[24:31], s[0:1], 0x20
	s_bfe_u32 s7, ttmp6, 0x40014
	s_bfe_u32 s33, ttmp6, 0x40010
	s_lshr_b32 s3, ttmp7, 16
	s_add_co_i32 s7, s7, 1
	s_and_b32 s21, ttmp7, 0xffff
	s_add_co_i32 s33, s33, 1
	s_bfe_u32 s10, ttmp6, 0x40008
	s_mul_i32 s7, s3, s7
	s_bfe_u32 s34, ttmp6, 0x40004
	s_mul_i32 s33, s21, s33
	s_mov_b32 s11, s23
	s_add_co_i32 s7, s10, s7
	s_add_co_i32 s34, s34, s33
	s_cmp_eq_u32 s15, 0
	s_cselect_b32 s15, s21, s34
	s_cselect_b32 s3, s3, s7
	s_wait_kmcnt 0x0
	s_mov_b32 s10, s24
	s_delay_alu instid0(SALU_CYCLE_1) | instskip(SKIP_2) | instid1(SALU_CYCLE_1)
	s_mul_u64 s[8:9], s[8:9], s[10:11]
	s_load_b32 s8, s[0:1], 0x40
	s_add_co_i32 s7, s9, s20
	s_lshr_b32 s7, s7, s25
	s_delay_alu instid0(SALU_CYCLE_1) | instskip(NEXT) | instid1(SALU_CYCLE_1)
	s_mul_i32 s9, s7, s26
	s_sub_co_i32 s9, s20, s9
	s_delay_alu instid0(SALU_CYCLE_1) | instskip(NEXT) | instid1(SALU_CYCLE_1)
	s_mul_hi_u32 s10, s9, s27
	s_add_co_i32 s10, s9, s10
	s_delay_alu instid0(SALU_CYCLE_1) | instskip(NEXT) | instid1(SALU_CYCLE_1)
	s_lshr_b32 s21, s10, s28
	s_mul_i32 s10, s21, s29
	s_delay_alu instid0(SALU_CYCLE_1) | instskip(NEXT) | instid1(SALU_CYCLE_1)
	s_sub_co_i32 s10, s9, s10
	s_mul_hi_u32 s9, s10, s30
	s_delay_alu instid0(SALU_CYCLE_1) | instskip(NEXT) | instid1(SALU_CYCLE_1)
	s_add_co_i32 s9, s10, s9
	s_lshr_b32 s25, s9, s31
	s_mov_b32 s9, s23
	s_wait_kmcnt 0x0
	s_mul_i32 s8, s25, s8
	s_delay_alu instid0(SALU_CYCLE_1) | instskip(NEXT) | instid1(SALU_CYCLE_1)
	s_sub_co_i32 s8, s10, s8
	s_mul_u64 s[10:11], s[8:9], s[22:23]
	s_delay_alu instid0(SALU_CYCLE_1) | instskip(NEXT) | instid1(SALU_CYCLE_1)
	s_add_co_i32 s8, s8, s11
	s_lshr_b32 s24, s8, s13
	s_delay_alu instid0(SALU_CYCLE_1) | instskip(NEXT) | instid1(SALU_CYCLE_1)
	s_add_co_i32 s24, s24, s15
	s_cmp_lt_i32 s24, s4
	s_cselect_b32 s8, -1, 0
	s_add_co_i32 s25, s25, s3
	s_delay_alu instid0(SALU_CYCLE_1) | instskip(SKIP_1) | instid1(SALU_CYCLE_1)
	s_cmp_lt_i32 s25, s6
	s_cselect_b32 s9, -1, 0
	s_and_b32 s8, s8, s9
	s_delay_alu instid0(SALU_CYCLE_1)
	s_and_not1_b32 vcc_lo, exec_lo, s8
	s_cbranch_vccnz .LBB25_24
; %bb.8:
	s_load_b128 s[8:11], s[0:1], 0x0
	s_mul_i32 s7, s7, s4
	s_mul_i32 s21, s21, s6
	s_wait_xcnt 0x0
	s_add_co_i32 s0, s24, s7
	s_add_co_i32 s1, s25, s21
	s_mul_i32 s0, s0, s5
	s_add_co_i32 s15, s15, s3
	s_add_co_i32 s1, s1, s0
	v_cvt_f32_u32_e32 v1, s16
	v_lshl_or_b32 v4, s1, 8, v0
	s_add_nc_u64 s[0:1], s[16:17], 0
	s_lshl_b32 s24, s16, 2
	s_xor_b64 s[6:7], s[0:1], 0
	s_add_co_i32 s0, s15, s2
	s_cvt_f32_u32 s3, s6
	s_cvt_f32_u32 s4, s7
	s_ashr_i32 s1, s0, 31
	v_rcp_iflag_f32_e32 v1, v1
	s_lshl_b64 s[0:1], s[0:1], 3
	s_fmamk_f32 s3, s4, 0x4f800000, s3
	s_wait_kmcnt 0x0
	global_load_b32 v3, v4, s[8:9] scale_offset
	s_add_nc_u64 s[0:1], s[10:11], s[0:1]
	s_mov_b32 s25, 0
	v_s_rcp_f32 s3, s3
	s_load_b64 s[28:29], s[0:1], 0x0
	v_ashrrev_i32_e32 v5, 31, v4
	s_wait_xcnt 0x0
	s_lshl_b64 s[0:1], s[24:25], 2
	v_mul_f32_e32 v1, 0x4f7ffffe, v1
	s_add_nc_u64 s[26:27], s[10:11], s[0:1]
	s_add_co_i32 s36, s2, -1
	s_sub_nc_u64 s[34:35], 0, s[6:7]
	s_mul_f32 s3, s3, 0x5f7ffffc
	v_cvt_u32_f32_e32 v1, v1
	s_delay_alu instid0(SALU_CYCLE_2) | instskip(NEXT) | instid1(SALU_CYCLE_3)
	s_mul_f32 s4, s3, 0x2f800000
	s_trunc_f32 s4, s4
	s_delay_alu instid0(SALU_CYCLE_3)
	s_fmamk_f32 s0, s4, 0xcf800000, s3
	s_wait_kmcnt 0x0
	v_mov_b32_e32 v2, s29
	v_lshl_add_u64 v[4:5], v[4:5], 2, s[8:9]
	s_cvt_u32_f32 s31, s4
	s_cvt_u32_f32 s30, s0
	s_mov_b64 s[8:9], 0xffffffff
.LBB25_9:                               ; =>This Inner Loop Header: Depth=1
	s_ashr_i32 s37, s36, 31
                                        ; implicit-def: $sgpr40_sgpr41
	s_delay_alu instid0(SALU_CYCLE_1) | instskip(NEXT) | instid1(SALU_CYCLE_1)
	s_mul_u64 s[0:1], s[36:37], s[18:19]
	s_and_b64 s[2:3], s[0:1], 0xffffffff00000000
	s_delay_alu instid0(SALU_CYCLE_1)
	s_cmp_lg_u64 s[2:3], 0
	s_mov_b32 s2, -1
	s_cbranch_scc0 .LBB25_11
; %bb.10:                               ;   in Loop: Header=BB25_9 Depth=1
	s_mul_u64 s[2:3], s[34:35], s[30:31]
	s_delay_alu instid0(SALU_CYCLE_1)
	s_mul_hi_u32 s5, s30, s3
	s_mul_i32 s4, s30, s3
	s_mul_hi_u32 s24, s30, s2
	s_mul_hi_u32 s17, s31, s2
	s_add_nc_u64 s[4:5], s[24:25], s[4:5]
	s_mul_i32 s2, s31, s2
	s_mul_hi_u32 s21, s31, s3
	s_add_co_u32 s2, s4, s2
	s_add_co_ci_u32 s24, s5, s17
	s_add_co_ci_u32 s5, s21, 0
	s_mul_i32 s4, s31, s3
	s_delay_alu instid0(SALU_CYCLE_1) | instskip(NEXT) | instid1(SALU_CYCLE_1)
	s_add_nc_u64 s[2:3], s[24:25], s[4:5]
	s_add_co_u32 s2, s30, s2
	s_cselect_b32 s4, -1, 0
	s_delay_alu instid0(SALU_CYCLE_1) | instskip(SKIP_1) | instid1(SALU_CYCLE_1)
	s_cmp_lg_u32 s4, 0
	s_add_co_ci_u32 s3, s31, s3
	s_mul_u64 s[4:5], s[34:35], s[2:3]
	s_delay_alu instid0(SALU_CYCLE_1)
	s_mul_hi_u32 s39, s2, s5
	s_mul_i32 s38, s2, s5
	s_mul_hi_u32 s24, s2, s4
	s_mul_hi_u32 s17, s3, s4
	s_mul_i32 s4, s3, s4
	s_add_nc_u64 s[38:39], s[24:25], s[38:39]
	s_mul_hi_u32 s21, s3, s5
	s_add_co_u32 s4, s38, s4
	s_add_co_ci_u32 s24, s39, s17
	s_mul_i32 s4, s3, s5
	s_add_co_ci_u32 s5, s21, 0
	s_delay_alu instid0(SALU_CYCLE_1) | instskip(NEXT) | instid1(SALU_CYCLE_1)
	s_add_nc_u64 s[4:5], s[24:25], s[4:5]
	s_add_co_u32 s17, s2, s4
	s_cselect_b32 s2, -1, 0
	s_delay_alu instid0(SALU_CYCLE_1) | instskip(SKIP_2) | instid1(SALU_CYCLE_1)
	s_cmp_lg_u32 s2, 0
	s_add_co_ci_u32 s21, s3, s5
	s_ashr_i32 s2, s1, 31
	s_mov_b32 s3, s2
	s_delay_alu instid0(SALU_CYCLE_1) | instskip(NEXT) | instid1(SALU_CYCLE_1)
	s_add_nc_u64 s[4:5], s[0:1], s[2:3]
	s_xor_b64 s[4:5], s[4:5], s[2:3]
	s_delay_alu instid0(SALU_CYCLE_1)
	s_mul_hi_u32 s39, s4, s21
	s_mul_i32 s38, s4, s21
	s_mul_hi_u32 s24, s4, s17
	s_mul_hi_u32 s29, s5, s17
	s_mul_i32 s17, s5, s17
	s_add_nc_u64 s[38:39], s[24:25], s[38:39]
	s_mul_hi_u32 s1, s5, s21
	s_add_co_u32 s17, s38, s17
	s_add_co_ci_u32 s24, s39, s29
	s_mul_i32 s40, s5, s21
	s_add_co_ci_u32 s41, s1, 0
	s_delay_alu instid0(SALU_CYCLE_1) | instskip(NEXT) | instid1(SALU_CYCLE_1)
	s_add_nc_u64 s[38:39], s[24:25], s[40:41]
	s_and_b64 s[40:41], s[38:39], 0xffffffff00000000
	s_delay_alu instid0(SALU_CYCLE_1) | instskip(NEXT) | instid1(SALU_CYCLE_1)
	s_or_b32 s40, s40, s38
	s_mul_u64 s[38:39], s[6:7], s[40:41]
	s_add_nc_u64 s[42:43], s[40:41], 1
	s_sub_co_u32 s1, s4, s38
	s_cselect_b32 s4, -1, 0
	s_sub_co_i32 s17, s5, s39
	s_cmp_lg_u32 s4, 0
	s_add_nc_u64 s[44:45], s[40:41], 2
	s_sub_co_ci_u32 s17, s17, s7
	s_sub_co_u32 s21, s1, s6
	s_cselect_b32 s24, -1, 0
	s_delay_alu instid0(SALU_CYCLE_1) | instskip(SKIP_1) | instid1(SALU_CYCLE_1)
	s_cmp_lg_u32 s24, 0
	s_sub_co_ci_u32 s17, s17, 0
	s_cmp_ge_u32 s17, s7
	s_cselect_b32 s24, -1, 0
	s_cmp_ge_u32 s21, s6
	s_cselect_b32 s21, -1, 0
	s_cmp_eq_u32 s17, s7
	s_cselect_b32 s17, s21, s24
	s_delay_alu instid0(SALU_CYCLE_1) | instskip(SKIP_4) | instid1(SALU_CYCLE_1)
	s_cmp_lg_u32 s17, 0
	s_cselect_b32 s17, s44, s42
	s_cselect_b32 s21, s45, s43
	s_cmp_lg_u32 s4, 0
	s_sub_co_ci_u32 s4, s5, s39
	s_cmp_ge_u32 s4, s7
	s_cselect_b32 s5, -1, 0
	s_cmp_ge_u32 s1, s6
	s_cselect_b32 s1, -1, 0
	s_cmp_eq_u32 s4, s7
	s_cselect_b32 s1, s1, s5
	s_delay_alu instid0(SALU_CYCLE_1) | instskip(SKIP_3) | instid1(SALU_CYCLE_1)
	s_cmp_lg_u32 s1, 0
	s_cselect_b32 s5, s21, s41
	s_cselect_b32 s4, s17, s40
	s_xor_b64 s[2:3], s[2:3], 0
	s_xor_b64 s[4:5], s[4:5], s[2:3]
	s_delay_alu instid0(SALU_CYCLE_1)
	s_sub_nc_u64 s[40:41], s[4:5], s[2:3]
	s_mov_b32 s2, 0
.LBB25_11:                              ;   in Loop: Header=BB25_9 Depth=1
	s_delay_alu instid0(SALU_CYCLE_1)
	s_and_not1_b32 vcc_lo, exec_lo, s2
	s_cbranch_vccnz .LBB25_13
; %bb.12:                               ;   in Loop: Header=BB25_9 Depth=1
	v_readfirstlane_b32 s1, v1
	s_sub_co_i32 s2, 0, s16
	s_delay_alu instid0(SALU_CYCLE_1) | instskip(NEXT) | instid1(SALU_CYCLE_1)
	s_mul_i32 s2, s2, s1
	s_mul_hi_u32 s2, s1, s2
	s_delay_alu instid0(SALU_CYCLE_1) | instskip(NEXT) | instid1(SALU_CYCLE_1)
	s_add_co_i32 s1, s1, s2
	s_mul_hi_u32 s1, s0, s1
	s_delay_alu instid0(SALU_CYCLE_1) | instskip(NEXT) | instid1(SALU_CYCLE_1)
	s_mul_i32 s2, s1, s16
	s_sub_co_i32 s0, s0, s2
	s_add_co_i32 s2, s1, 1
	s_sub_co_i32 s3, s0, s16
	s_cmp_ge_u32 s0, s16
	s_cselect_b32 s1, s2, s1
	s_cselect_b32 s0, s3, s0
	s_add_co_i32 s2, s1, 1
	s_cmp_ge_u32 s0, s16
	s_cselect_b32 s24, s2, s1
	s_delay_alu instid0(SALU_CYCLE_1)
	s_mov_b64 s[40:41], s[24:25]
.LBB25_13:                              ;   in Loop: Header=BB25_9 Depth=1
	s_delay_alu instid0(SALU_CYCLE_1)
	s_cmp_lg_u32 s20, s40
	s_mov_b32 s0, -1
                                        ; implicit-def: $vgpr6_vgpr7
                                        ; implicit-def: $sgpr24
                                        ; implicit-def: $sgpr17
                                        ; implicit-def: $sgpr21
                                        ; implicit-def: $sgpr29
	s_cbranch_scc0 .LBB25_18
; %bb.14:                               ;   in Loop: Header=BB25_9 Depth=1
	s_add_co_i32 s42, s36, s15
	v_max_num_f32_e64 v6, s28, s28
	s_add_co_i32 s0, s42, s16
	s_mov_b32 s29, s20
	s_load_b64 s[38:39], s[10:11], s0 offset:0x0 scale_offset
	s_wait_xcnt 0x0
	v_readfirstlane_b32 s0, v6
	s_wait_kmcnt 0x0
	v_max_num_f32_e64 v7, s38, s38
	s_delay_alu instid0(VALU_DEP_1) | instskip(SKIP_1) | instid1(SALU_CYCLE_3)
	v_readfirstlane_b32 s1, v7
	s_max_num_f32 s17, s0, s1
	s_sub_f32 s33, s28, s17
	s_sub_f32 s37, s38, s17
	s_delay_alu instid0(SALU_CYCLE_2)
	s_cmp_nlt_f32 s33, 0xc2ce8ed0
	s_cselect_b32 s1, -1, 0
	s_cmp_ngt_f32 s33, 0x42b17218
	s_cselect_b32 s2, -1, 0
	s_cmp_ge_f32 s33, 0xc1a00000
	s_cselect_b32 s0, -1, 0
	s_cmp_nlt_f32 s37, 0xc2ce8ed0
	s_cselect_b32 s3, -1, 0
	s_cmp_ngt_f32 s37, 0x42b17218
	s_cselect_b32 s4, -1, 0
	s_cmp_ge_f32 s37, 0xc1a00000
	s_cselect_b32 s5, -1, 0
	s_and_b64 s[44:45], s[40:41], s[8:9]
	s_delay_alu instid0(SALU_CYCLE_1) | instskip(NEXT) | instid1(SALU_CYCLE_1)
	s_mul_u64 s[44:45], s[44:45], s[22:23]
	s_add_co_i32 s21, s45, s40
	s_delay_alu instid0(SALU_CYCLE_1) | instskip(NEXT) | instid1(SALU_CYCLE_1)
	s_lshr_b32 s21, s21, s13
	s_mul_i32 s24, s21, s14
	s_delay_alu instid0(SALU_CYCLE_1) | instskip(SKIP_3) | instid1(SALU_CYCLE_1)
	s_cmp_eq_u32 s24, s40
	s_cselect_b32 s24, -1, 0
	s_cmp_lt_u32 s21, s12
	s_cselect_b32 s21, -1, 0
	s_or_b32 s21, s21, s24
	s_mov_b32 s24, -1
	s_and_b32 vcc_lo, exec_lo, s21
	s_mov_b32 s21, s36
	s_cbranch_vccnz .LBB25_16
; %bb.15:                               ;   in Loop: Header=BB25_9 Depth=1
	s_add_co_i32 s21, s36, -1
	s_mov_b32 s24, 0
	s_mov_b32 s29, s40
.LBB25_16:                              ;   in Loop: Header=BB25_9 Depth=1
	v_lshl_or_b32 v6, s42, 8, v0
	s_mul_f32 s38, s37, 0x3fb8aa3b
	s_mul_f32 s40, s33, 0x3fb8aa3b
	s_delay_alu instid0(SALU_CYCLE_2)
	s_xor_b32 s41, s38, 0x80000000
	global_load_b32 v7, v6, s[26:27] scale_offset
	s_fmamk_f32 s41, s37, 0x3fb8aa3b, s41
	s_rndne_f32 s43, s38
	s_xor_b32 s42, s40, 0x80000000
	s_rndne_f32 s44, s40
	s_fmamk_f32 s37, s37, 0x32a5705f, s41
	s_sub_f32 s38, s38, s43
	s_fmamk_f32 s42, s33, 0x3fb8aa3b, s42
	s_sub_f32 s40, s40, s44
	s_delay_alu instid0(SALU_CYCLE_1) | instskip(NEXT) | instid1(SALU_CYCLE_1)
	s_add_f32 s37, s38, s37
	s_fmamk_f32 s33, s33, 0x32a5705f, s42
	s_cvt_i32_f32 s38, s43
	s_delay_alu instid0(SALU_CYCLE_1) | instskip(NEXT) | instid1(SALU_CYCLE_1)
	v_s_exp_f32 s37, s37
	s_add_f32 s33, s40, s33
	s_cvt_i32_f32 s40, s44
	s_delay_alu instid0(SALU_CYCLE_2) | instskip(SKIP_1) | instid1(TRANS32_DEP_2)
	v_s_exp_f32 s33, s33
	s_wait_xcnt 0x0
	v_ldexp_f32 v6, s37, s38
	s_delay_alu instid0(TRANS32_DEP_1) | instskip(NEXT) | instid1(VALU_DEP_1)
	v_ldexp_f32 v8, s33, s40
	v_dual_cndmask_b32 v6, 0, v6, s3 :: v_dual_cndmask_b32 v8, 0, v8, s1
	s_delay_alu instid0(VALU_DEP_1) | instskip(NEXT) | instid1(VALU_DEP_2)
	v_cndmask_b32_e64 v6, 0x7f800000, v6, s4
	v_cndmask_b32_e64 v9, 0x7f800000, v8, s2
	s_delay_alu instid0(VALU_DEP_2) | instskip(NEXT) | instid1(VALU_DEP_2)
	v_dual_cndmask_b32 v8, 0, v6, s5 :: v_dual_mov_b32 v6, s39
	v_cndmask_b32_e64 v10, 0, v9, s0
	s_wait_loadcnt 0x0
	s_delay_alu instid0(VALU_DEP_2) | instskip(NEXT) | instid1(VALU_DEP_1)
	v_pk_mul_f32 v[6:7], v[6:7], v[8:9] op_sel_hi:[1,0]
	v_pk_fma_f32 v[6:7], v[2:3], v[10:11], v[6:7] op_sel_hi:[1,0,1]
	s_cbranch_execz .LBB25_19
.LBB25_17:                              ;   in Loop: Header=BB25_9 Depth=1
	s_and_not1_b32 vcc_lo, exec_lo, s24
	s_cbranch_vccnz .LBB25_20
	s_branch .LBB25_23
.LBB25_18:                              ;   in Loop: Header=BB25_9 Depth=1
	s_and_not1_b32 vcc_lo, exec_lo, s0
	s_cbranch_vccnz .LBB25_17
.LBB25_19:                              ;   in Loop: Header=BB25_9 Depth=1
	s_wait_loadcnt 0x0
	v_mov_b64_e32 v[6:7], v[2:3]
	s_add_co_i32 s21, s36, -1
	s_mov_b32 s29, s20
	s_mov_b32 s17, s28
	s_cbranch_execz .LBB25_23
.LBB25_20:                              ;   in Loop: Header=BB25_9 Depth=1
	s_wait_loadcnt 0x0
	s_delay_alu instid0(VALU_DEP_1)
	v_mov_b64_e32 v[2:3], v[6:7]
	s_mov_b32 s20, s29
	s_mov_b32 s36, s21
	s_mov_b32 s28, s17
	s_branch .LBB25_9
.LBB25_21:
                                        ; implicit-def: $sgpr20_sgpr21
	s_branch .LBB25_2
.LBB25_22:
                                        ; implicit-def: $sgpr24_sgpr25
	s_load_b96 s[12:14], s[0:1], 0x44
	s_branch .LBB25_5
.LBB25_23:
	s_delay_alu instid0(VALU_DEP_1) | instskip(NEXT) | instid1(VALU_DEP_1)
	v_div_scale_f32 v0, null, v6, v6, v7
	v_rcp_f32_e32 v1, v0
	v_nop
	s_delay_alu instid0(TRANS32_DEP_1) | instskip(NEXT) | instid1(VALU_DEP_1)
	v_fma_f32 v2, -v0, v1, 1.0
	v_fmac_f32_e32 v1, v2, v1
	v_div_scale_f32 v2, vcc_lo, v7, v6, v7
	s_wait_loadcnt 0x0
	s_delay_alu instid0(VALU_DEP_1) | instskip(NEXT) | instid1(VALU_DEP_1)
	v_mul_f32_e32 v3, v2, v1
	v_fma_f32 v8, -v0, v3, v2
	s_delay_alu instid0(VALU_DEP_1) | instskip(NEXT) | instid1(VALU_DEP_1)
	v_fmac_f32_e32 v3, v8, v1
	v_fma_f32 v0, -v0, v3, v2
	s_delay_alu instid0(VALU_DEP_1) | instskip(NEXT) | instid1(VALU_DEP_1)
	v_div_fmas_f32 v0, v0, v1, v3
	v_div_fixup_f32 v0, v0, v6, v7
	global_store_b32 v[4:5], v0, off
.LBB25_24:
	s_endpgm
	.section	.rodata,"a",@progbits
	.p2align	6, 0x0
	.amdhsa_kernel _ZL33flash_attn_stream_k_fixup_generalILi256ELi1ELi1EEvPfPK15HIP_vector_typeIfLj2EEiiiiS1_IjLj3EES5_S5_S5_
		.amdhsa_group_segment_fixed_size 0
		.amdhsa_private_segment_fixed_size 0
		.amdhsa_kernarg_size 336
		.amdhsa_user_sgpr_count 2
		.amdhsa_user_sgpr_dispatch_ptr 0
		.amdhsa_user_sgpr_queue_ptr 0
		.amdhsa_user_sgpr_kernarg_segment_ptr 1
		.amdhsa_user_sgpr_dispatch_id 0
		.amdhsa_user_sgpr_kernarg_preload_length 0
		.amdhsa_user_sgpr_kernarg_preload_offset 0
		.amdhsa_user_sgpr_private_segment_size 0
		.amdhsa_wavefront_size32 1
		.amdhsa_uses_dynamic_stack 0
		.amdhsa_enable_private_segment 0
		.amdhsa_system_sgpr_workgroup_id_x 1
		.amdhsa_system_sgpr_workgroup_id_y 1
		.amdhsa_system_sgpr_workgroup_id_z 1
		.amdhsa_system_sgpr_workgroup_info 0
		.amdhsa_system_vgpr_workitem_id 0
		.amdhsa_next_free_vgpr 12
		.amdhsa_next_free_sgpr 46
		.amdhsa_named_barrier_count 0
		.amdhsa_reserve_vcc 1
		.amdhsa_float_round_mode_32 0
		.amdhsa_float_round_mode_16_64 0
		.amdhsa_float_denorm_mode_32 3
		.amdhsa_float_denorm_mode_16_64 3
		.amdhsa_fp16_overflow 0
		.amdhsa_memory_ordered 1
		.amdhsa_forward_progress 1
		.amdhsa_inst_pref_size 26
		.amdhsa_round_robin_scheduling 0
		.amdhsa_exception_fp_ieee_invalid_op 0
		.amdhsa_exception_fp_denorm_src 0
		.amdhsa_exception_fp_ieee_div_zero 0
		.amdhsa_exception_fp_ieee_overflow 0
		.amdhsa_exception_fp_ieee_underflow 0
		.amdhsa_exception_fp_ieee_inexact 0
		.amdhsa_exception_int_div_zero 0
	.end_amdhsa_kernel
	.section	.text._ZL33flash_attn_stream_k_fixup_generalILi256ELi1ELi1EEvPfPK15HIP_vector_typeIfLj2EEiiiiS1_IjLj3EES5_S5_S5_,"axG",@progbits,_ZL33flash_attn_stream_k_fixup_generalILi256ELi1ELi1EEvPfPK15HIP_vector_typeIfLj2EEiiiiS1_IjLj3EES5_S5_S5_,comdat
.Lfunc_end25:
	.size	_ZL33flash_attn_stream_k_fixup_generalILi256ELi1ELi1EEvPfPK15HIP_vector_typeIfLj2EEiiiiS1_IjLj3EES5_S5_S5_, .Lfunc_end25-_ZL33flash_attn_stream_k_fixup_generalILi256ELi1ELi1EEvPfPK15HIP_vector_typeIfLj2EEiiiiS1_IjLj3EES5_S5_S5_
                                        ; -- End function
	.set _ZL33flash_attn_stream_k_fixup_generalILi256ELi1ELi1EEvPfPK15HIP_vector_typeIfLj2EEiiiiS1_IjLj3EES5_S5_S5_.num_vgpr, 12
	.set _ZL33flash_attn_stream_k_fixup_generalILi256ELi1ELi1EEvPfPK15HIP_vector_typeIfLj2EEiiiiS1_IjLj3EES5_S5_S5_.num_agpr, 0
	.set _ZL33flash_attn_stream_k_fixup_generalILi256ELi1ELi1EEvPfPK15HIP_vector_typeIfLj2EEiiiiS1_IjLj3EES5_S5_S5_.numbered_sgpr, 46
	.set _ZL33flash_attn_stream_k_fixup_generalILi256ELi1ELi1EEvPfPK15HIP_vector_typeIfLj2EEiiiiS1_IjLj3EES5_S5_S5_.num_named_barrier, 0
	.set _ZL33flash_attn_stream_k_fixup_generalILi256ELi1ELi1EEvPfPK15HIP_vector_typeIfLj2EEiiiiS1_IjLj3EES5_S5_S5_.private_seg_size, 0
	.set _ZL33flash_attn_stream_k_fixup_generalILi256ELi1ELi1EEvPfPK15HIP_vector_typeIfLj2EEiiiiS1_IjLj3EES5_S5_S5_.uses_vcc, 1
	.set _ZL33flash_attn_stream_k_fixup_generalILi256ELi1ELi1EEvPfPK15HIP_vector_typeIfLj2EEiiiiS1_IjLj3EES5_S5_S5_.uses_flat_scratch, 0
	.set _ZL33flash_attn_stream_k_fixup_generalILi256ELi1ELi1EEvPfPK15HIP_vector_typeIfLj2EEiiiiS1_IjLj3EES5_S5_S5_.has_dyn_sized_stack, 0
	.set _ZL33flash_attn_stream_k_fixup_generalILi256ELi1ELi1EEvPfPK15HIP_vector_typeIfLj2EEiiiiS1_IjLj3EES5_S5_S5_.has_recursion, 0
	.set _ZL33flash_attn_stream_k_fixup_generalILi256ELi1ELi1EEvPfPK15HIP_vector_typeIfLj2EEiiiiS1_IjLj3EES5_S5_S5_.has_indirect_call, 0
	.section	.AMDGPU.csdata,"",@progbits
; Kernel info:
; codeLenInByte = 3308
; TotalNumSgprs: 48
; NumVgprs: 12
; ScratchSize: 0
; MemoryBound: 0
; FloatMode: 240
; IeeeMode: 1
; LDSByteSize: 0 bytes/workgroup (compile time only)
; SGPRBlocks: 0
; VGPRBlocks: 0
; NumSGPRsForWavesPerEU: 48
; NumVGPRsForWavesPerEU: 12
; NamedBarCnt: 0
; Occupancy: 16
; WaveLimiterHint : 0
; COMPUTE_PGM_RSRC2:SCRATCH_EN: 0
; COMPUTE_PGM_RSRC2:USER_SGPR: 2
; COMPUTE_PGM_RSRC2:TRAP_HANDLER: 0
; COMPUTE_PGM_RSRC2:TGID_X_EN: 1
; COMPUTE_PGM_RSRC2:TGID_Y_EN: 1
; COMPUTE_PGM_RSRC2:TGID_Z_EN: 1
; COMPUTE_PGM_RSRC2:TIDIG_COMP_CNT: 0
	.section	.text._ZL26flash_attn_combine_resultsILi256EEvPKfPK15HIP_vector_typeIfLj2EEPfi,"axG",@progbits,_ZL26flash_attn_combine_resultsILi256EEvPKfPK15HIP_vector_typeIfLj2EEPfi,comdat
	.globl	_ZL26flash_attn_combine_resultsILi256EEvPKfPK15HIP_vector_typeIfLj2EEPfi ; -- Begin function _ZL26flash_attn_combine_resultsILi256EEvPKfPK15HIP_vector_typeIfLj2EEPfi
	.p2align	8
	.type	_ZL26flash_attn_combine_resultsILi256EEvPKfPK15HIP_vector_typeIfLj2EEPfi,@function
_ZL26flash_attn_combine_resultsILi256EEvPKfPK15HIP_vector_typeIfLj2EEPfi: ; @_ZL26flash_attn_combine_resultsILi256EEvPKfPK15HIP_vector_typeIfLj2EEPfi
; %bb.0:
	s_clause 0x2
	s_load_b128 s[4:7], s[0:1], 0x0
	s_load_b96 s[8:10], s[0:1], 0x10
	s_load_b64 s[2:3], s[0:1], 0x20
	s_bfe_u32 s11, ttmp6, 0x4000c
	s_wait_xcnt 0x0
	s_and_b32 s0, ttmp6, 15
	s_add_co_i32 s11, s11, 1
	s_and_b32 s12, ttmp7, 0xffff
	s_mul_i32 s1, ttmp9, s11
	s_bfe_u32 s11, ttmp6, 0x40010
	s_bfe_u32 s13, ttmp6, 0x40014
	s_add_co_i32 s11, s11, 1
	s_add_co_i32 s0, s0, s1
	s_mul_i32 s1, s12, s11
	s_bfe_u32 s11, ttmp6, 0x40004
	s_lshr_b32 s14, ttmp7, 16
	s_add_co_i32 s13, s13, 1
	s_add_co_i32 s11, s11, s1
	s_mul_i32 s1, s14, s13
	s_bfe_u32 s13, ttmp6, 0x40008
	s_getreg_b32 s15, hwreg(HW_REG_IB_STS2, 6, 4)
	s_add_co_i32 s13, s13, s1
	s_cmp_eq_u32 s15, 0
	v_mov_b32_e32 v2, v0
	s_cselect_b32 s1, s14, s13
	s_cselect_b32 s0, ttmp9, s0
	s_wait_kmcnt 0x0
	s_mul_i32 s1, s2, s1
	s_cselect_b32 s2, s12, s11
	s_add_co_i32 s0, s1, s0
	s_lshl_b32 s12, s10, 1
	s_mul_i32 s11, s0, s3
	s_mov_b32 s13, exec_lo
	s_add_co_i32 s11, s11, s2
	s_delay_alu instid0(SALU_CYCLE_1)
	s_mul_i32 s2, s11, s10
	v_cmpx_gt_i32_e64 s12, v0
	s_cbranch_execz .LBB26_13
; %bb.1:
	v_xad_u32 v1, v0, -1, s12
	s_ashr_i32 s3, s2, 31
	s_mov_b32 s0, -1
	s_mov_b32 s14, exec_lo
	s_delay_alu instid0(VALU_DEP_1)
	v_cmpx_lt_u32_e32 0xff, v1
	s_cbranch_execz .LBB26_10
; %bb.2:
	v_lshrrev_b32_e32 v6, 8, v1
	v_or_b32_e32 v1, 0x100, v0
	s_lshl_b64 s[0:1], s[2:3], 3
	v_mov_b32_e32 v4, 0
	s_add_nc_u64 s[0:1], s[6:7], s[0:1]
	v_add_nc_u32_e32 v2, -1, v6
	s_delay_alu instid0(VALU_DEP_1) | instskip(SKIP_1) | instid1(VALU_DEP_2)
	v_lshrrev_b32_e32 v3, 1, v2
	v_cmp_lt_u32_e32 vcc_lo, 13, v2
	v_add_nc_u32_e32 v7, 1, v3
	v_mov_b64_e32 v[2:3], v[0:1]
	s_and_saveexec_b32 s15, vcc_lo
	s_cbranch_execz .LBB26_6
; %bb.3:
	v_mov_b64_e32 v[2:3], v[0:1]
	v_dual_mov_b32 v5, 0 :: v_dual_bitop2_b32 v8, -8, v7 bitop3:0x40
	v_lshl_add_u32 v9, v0, 2, 0
	s_mov_b32 s16, 0
	s_mov_b32 s17, 0
.LBB26_4:                               ; =>This Inner Loop Header: Depth=1
	s_delay_alu instid0(VALU_DEP_2) | instskip(NEXT) | instid1(VALU_DEP_4)
	v_dual_mov_b32 v4, v2 :: v_dual_mov_b32 v11, v5
	v_dual_mov_b32 v13, v5 :: v_dual_add_nc_u32 v10, 0x200, v3
	v_dual_mov_b32 v15, v5 :: v_dual_add_nc_u32 v12, 0x400, v3
	s_delay_alu instid0(VALU_DEP_3) | instskip(SKIP_1) | instid1(VALU_DEP_4)
	v_lshl_add_u64 v[24:25], v[4:5], 2, s[0:1]
	v_dual_mov_b32 v4, v3 :: v_dual_add_nc_u32 v8, -8, v8
	v_lshl_add_u64 v[10:11], v[10:11], 2, s[0:1]
	v_dual_mov_b32 v17, v5 :: v_dual_add_nc_u32 v14, 0x600, v3
	s_delay_alu instid0(VALU_DEP_3)
	v_lshl_add_u64 v[26:27], v[4:5], 2, s[0:1]
	v_add_nc_u32_e32 v4, 0x200, v2
	global_load_b32 v1, v[24:25], off
	v_lshl_add_u64 v[12:13], v[12:13], 2, s[0:1]
	v_dual_mov_b32 v19, v5 :: v_dual_add_nc_u32 v16, 0x800, v3
	global_load_b32 v28, v[26:27], off
	s_wait_xcnt 0x1
	v_lshl_add_u64 v[24:25], v[4:5], 2, s[0:1]
	v_add_nc_u32_e32 v4, 0x400, v2
	s_clause 0x1
	global_load_b32 v29, v[24:25], off
	global_load_b32 v30, v[10:11], off
	s_wait_xcnt 0x2
	v_lshl_add_u64 v[26:27], v[4:5], 2, s[0:1]
	v_add_nc_u32_e32 v4, 0x600, v2
	s_clause 0x1
	global_load_b32 v24, v[26:27], off
	global_load_b32 v25, v[12:13], off
	s_wait_xcnt 0x2
	v_lshl_add_u64 v[10:11], v[4:5], 2, s[0:1]
	v_add_nc_u32_e32 v4, 0x800, v2
	v_lshl_add_u64 v[14:15], v[14:15], 2, s[0:1]
	s_clause 0x1
	global_load_b32 v26, v[10:11], off
	global_load_b32 v27, v[14:15], off
	s_wait_xcnt 0x2
	v_lshl_add_u64 v[12:13], v[4:5], 2, s[0:1]
	v_add_nc_u32_e32 v4, 0xa00, v2
	v_dual_mov_b32 v21, v5 :: v_dual_add_nc_u32 v18, 0xa00, v3
	v_lshl_add_u64 v[16:17], v[16:17], 2, s[0:1]
	v_dual_mov_b32 v23, v5 :: v_dual_add_nc_u32 v20, 0xc00, v3
	s_wait_xcnt 0x1
	v_lshl_add_u64 v[10:11], v[4:5], 2, s[0:1]
	v_add_nc_u32_e32 v4, 0xc00, v2
	s_clause 0x1
	global_load_b32 v14, v[12:13], off
	global_load_b32 v15, v[16:17], off
	v_add_nc_u32_e32 v22, 0xe00, v3
	v_lshl_add_u64 v[18:19], v[18:19], 2, s[0:1]
	v_lshl_add_u64 v[20:21], v[20:21], 2, s[0:1]
	s_wait_xcnt 0x1
	v_lshl_add_u64 v[12:13], v[4:5], 2, s[0:1]
	v_add_nc_u32_e32 v4, 0xe00, v2
	s_clause 0x1
	global_load_b32 v16, v[10:11], off
	global_load_b32 v17, v[18:19], off
	v_lshl_add_u64 v[22:23], v[22:23], 2, s[0:1]
	s_add_co_i32 s17, s17, 16
	v_cmp_eq_u32_e32 vcc_lo, 0, v8
	s_wait_xcnt 0x1
	v_lshl_add_u64 v[10:11], v[4:5], 2, s[0:1]
	s_clause 0x3
	global_load_b32 v18, v[12:13], off
	global_load_b32 v19, v[20:21], off
	;; [unrolled: 1-line block ×4, first 2 shown]
	v_dual_mov_b32 v4, s17 :: v_dual_add_nc_u32 v3, 0x1000, v3
	v_add_nc_u32_e32 v2, 0x1000, v2
	s_or_b32 s16, vcc_lo, s16
	s_wait_loadcnt 0xe
	ds_store_2addr_stride64_b32 v9, v1, v28 offset1:4
	s_wait_loadcnt 0xc
	ds_store_2addr_stride64_b32 v9, v29, v30 offset0:8 offset1:12
	s_wait_loadcnt 0xa
	ds_store_2addr_stride64_b32 v9, v24, v25 offset0:16 offset1:20
	;; [unrolled: 2-line block ×7, first 2 shown]
	v_add_nc_u32_e32 v9, 0x4000, v9
	s_wait_xcnt 0x0
	s_and_not1_b32 exec_lo, exec_lo, s16
	s_cbranch_execnz .LBB26_4
; %bb.5:
	s_or_b32 exec_lo, exec_lo, s16
.LBB26_6:
	s_delay_alu instid0(SALU_CYCLE_1) | instskip(SKIP_3) | instid1(VALU_DEP_1)
	s_or_b32 exec_lo, exec_lo, s15
	v_and_b32_e32 v1, 7, v7
	s_mov_b32 s16, 0
	s_mov_b32 s15, exec_lo
	v_cmpx_ne_u32_e32 0, v1
	s_cbranch_execz .LBB26_9
; %bb.7:
	v_lshlrev_b32_e32 v5, 2, v0
	s_delay_alu instid0(VALU_DEP_1) | instskip(NEXT) | instid1(VALU_DEP_1)
	v_lshl_or_b32 v4, v4, 10, v5
	v_dual_mov_b32 v5, 0 :: v_dual_add_nc_u32 v7, 0, v4
.LBB26_8:                               ; =>This Inner Loop Header: Depth=1
	v_dual_mov_b32 v4, v2 :: v_dual_add_nc_u32 v1, -1, v1
	v_add_nc_u32_e32 v2, 0x200, v2
	s_delay_alu instid0(VALU_DEP_2) | instskip(SKIP_1) | instid1(VALU_DEP_4)
	v_lshl_add_u64 v[8:9], v[4:5], 2, s[0:1]
	v_dual_mov_b32 v4, v3 :: v_dual_add_nc_u32 v3, 0x200, v3
	v_cmp_eq_u32_e32 vcc_lo, 0, v1
	s_delay_alu instid0(VALU_DEP_2)
	v_lshl_add_u64 v[10:11], v[4:5], 2, s[0:1]
	s_clause 0x1
	global_load_b32 v4, v[8:9], off
	global_load_b32 v12, v[10:11], off
	s_or_b32 s16, vcc_lo, s16
	s_wait_loadcnt 0x0
	ds_store_2addr_stride64_b32 v7, v4, v12 offset1:4
	v_add_nc_u32_e32 v7, 0x800, v7
	s_and_not1_b32 exec_lo, exec_lo, s16
	s_cbranch_execnz .LBB26_8
.LBB26_9:
	s_or_b32 exec_lo, exec_lo, s15
	v_add_nc_u32_e32 v1, 1, v6
	s_delay_alu instid0(VALU_DEP_1) | instskip(NEXT) | instid1(VALU_DEP_1)
	v_and_b32_e32 v2, 0x1fffffe, v1
	v_cmp_ne_u32_e32 vcc_lo, v1, v2
	v_lshl_or_b32 v2, v2, 8, v0
	s_or_not1_b32 s0, vcc_lo, exec_lo
.LBB26_10:
	s_or_b32 exec_lo, exec_lo, s14
	s_delay_alu instid0(SALU_CYCLE_1)
	s_and_b32 exec_lo, exec_lo, s0
	s_cbranch_execz .LBB26_13
; %bb.11:
	v_mov_b32_e32 v3, 0
	s_lshl_b64 s[0:1], s[2:3], 3
	v_lshl_add_u32 v1, v2, 2, 0
	s_add_nc_u64 s[0:1], s[6:7], s[0:1]
	s_delay_alu instid0(VALU_DEP_2) | instid1(SALU_CYCLE_1)
	v_lshl_add_u64 v[4:5], v[2:3], 2, s[0:1]
	s_mov_b32 s0, 0
.LBB26_12:                              ; =>This Inner Loop Header: Depth=1
	global_load_b32 v3, v[4:5], off
	v_add_nc_u32_e32 v2, 0x100, v2
	s_wait_xcnt 0x0
	v_add_nc_u64_e32 v[4:5], 0x400, v[4:5]
	s_delay_alu instid0(VALU_DEP_2)
	v_cmp_le_i32_e32 vcc_lo, s12, v2
	s_or_b32 s0, vcc_lo, s0
	s_wait_loadcnt 0x0
	ds_store_b32 v1, v3
	v_add_nc_u32_e32 v1, 0x400, v1
	s_and_not1_b32 exec_lo, exec_lo, s0
	s_cbranch_execnz .LBB26_12
.LBB26_13:
	s_or_b32 exec_lo, exec_lo, s13
	v_mov_b32_e32 v1, 0
	s_wait_dscnt 0x0
	s_barrier_signal -1
	s_barrier_wait -1
	ds_load_b32 v1, v1
	s_cmp_lt_i32 s10, 2
	s_wait_dscnt 0x0
	v_readfirstlane_b32 s3, v1
	s_cbranch_scc1 .LBB26_21
; %bb.14:
	s_cmp_eq_u32 s10, 2
	s_cbranch_scc1 .LBB26_18
; %bb.15:
	v_dual_mov_b32 v3, s3 :: v_dual_mov_b32 v4, s3
	s_add_co_i32 s1, s10, -1
	s_add_co_i32 s7, 0, 8
	s_and_b32 s3, s1, -2
	s_mov_b32 s6, 2
.LBB26_16:                              ; =>This Inner Loop Header: Depth=1
	v_dual_mov_b32 v1, s7 :: v_dual_mov_b32 v2, v3
	s_cmp_lg_u32 s3, s6
	s_cselect_b32 s12, -1, 0
	ds_load_2addr_b32 v[6:7], v1 offset1:2
	v_dual_mov_b32 v1, v4 :: v_dual_max_num_f32 v5, v2, v2
	s_delay_alu instid0(VALU_DEP_1)
	v_max_num_f32_e32 v3, v1, v1
	s_wait_dscnt 0x0
	v_cmp_u_f32_e32 vcc_lo, v7, v7
	v_max_num_f32_e32 v7, v7, v7
	v_cndmask_b32_e64 v4, 0, 1, vcc_lo
	v_cmp_u_f32_e32 vcc_lo, v6, v6
	v_max_num_f32_e32 v6, v6, v6
	s_delay_alu instid0(VALU_DEP_3) | instskip(SKIP_1) | instid1(VALU_DEP_3)
	v_readfirstlane_b32 s0, v4
	v_cndmask_b32_e64 v8, 0, 1, vcc_lo
	v_dual_max_num_f32 v4, v3, v7 :: v_dual_max_num_f32 v3, v5, v6
	s_lshl_b32 s0, s0, 1
	s_delay_alu instid0(VALU_DEP_2) | instskip(SKIP_1) | instid1(SALU_CYCLE_1)
	v_readfirstlane_b32 s13, v8
	s_or_b32 s0, s13, s0
	s_and_b32 s13, s0, 3
	s_delay_alu instid0(SALU_CYCLE_1)
	s_cmp_lg_u32 s13, 0
	s_cselect_b32 s0, -1, 0
	s_cmp_eq_u32 s13, 0
	s_cselect_b32 s13, -1, 0
	s_add_co_i32 s6, s6, 2
	s_and_b32 s12, s13, s12
	s_add_co_i32 s7, s7, 16
	s_and_b32 vcc_lo, exec_lo, s12
	s_cbranch_vccnz .LBB26_16
; %bb.17:
	v_dual_cndmask_b32 v2, v3, v2, s0 :: v_dual_cndmask_b32 v1, v4, v1, s0
	s_add_co_i32 s6, s6, -4
	s_and_b32 s7, s0, exec_lo
	s_cselect_b32 s6, s6, s1
	s_delay_alu instid0(VALU_DEP_1) | instskip(SKIP_3) | instid1(VALU_DEP_1)
	v_dual_max_num_f32 v2, v2, v2 :: v_dual_max_num_f32 v1, v1, v1
	s_or_b32 s6, s6, 1
	s_cmp_lg_u32 s1, s3
	s_cselect_b32 s1, -1, 0
	v_readfirstlane_b32 s7, v2
	v_readfirstlane_b32 s12, v1
	s_or_b32 s0, s1, s0
	s_max_num_f32 s3, s7, s12
	s_and_b32 vcc_lo, exec_lo, s0
	s_cbranch_vccnz .LBB26_19
	s_branch .LBB26_21
.LBB26_18:
	s_mov_b32 s6, 1
	s_cbranch_execz .LBB26_21
.LBB26_19:
	s_lshl_b32 s1, s6, 3
	s_sub_co_i32 s0, s10, s6
	s_add_co_i32 s1, s1, 0
.LBB26_20:                              ; =>This Inner Loop Header: Depth=1
	s_delay_alu instid0(SALU_CYCLE_1) | instskip(NEXT) | instid1(SALU_CYCLE_1)
	v_mov_b32_e32 v1, s1
	v_max_num_f32_e64 v2, s3, s3
	s_add_co_i32 s0, s0, -1
	s_add_co_i32 s1, s1, 8
	s_cmp_eq_u32 s0, 0
	ds_load_b32 v1, v1
	v_readfirstlane_b32 s3, v2
	s_wait_dscnt 0x0
	v_max_num_f32_e32 v1, v1, v1
	s_delay_alu instid0(VALU_DEP_1)
	v_readfirstlane_b32 s6, v1
	s_max_num_f32 s3, s3, s6
	s_cbranch_scc0 .LBB26_20
.LBB26_21:
	s_cmp_lt_i32 s10, 1
	s_cbranch_scc1 .LBB26_26
; %bb.22:
	s_lshl_b32 s0, s2, 8
	s_delay_alu instid0(SALU_CYCLE_1) | instskip(NEXT) | instid1(SALU_CYCLE_1)
	s_ashr_i32 s1, s0, 31
	s_lshl_b64 s[0:1], s[0:1], 2
	s_cmp_lt_u32 s10, 8
	s_add_nc_u64 s[0:1], s[4:5], s[0:1]
	s_cbranch_scc1 .LBB26_27
; %bb.23:
	v_mov_b32_e32 v2, 0
	v_or_b32_e32 v1, 0x700, v0
	s_and_b32 s2, s10, 0x7ffffff8
	s_mov_b32 s4, 0
	s_mov_b32 s5, 0
	v_mov_b32_e32 v3, v2
.LBB26_24:                              ; =>This Inner Loop Header: Depth=1
	v_add_nc_u32_e32 v4, 0xfffff900, v1
	v_dual_mov_b32 v16, s5 :: v_dual_add_nc_u32 v5, 0xfffffa00, v1
	s_clause 0x1
	global_load_b32 v21, v4, s[0:1] scale_offset
	global_load_b32 v23, v5, s[0:1] scale_offset
	s_wait_xcnt 0x1
	v_add_nc_u32_e32 v4, 0xfffffb00, v1
	s_wait_xcnt 0x0
	v_add_nc_u32_e32 v5, 0xfffffc00, v1
	s_clause 0x1
	global_load_b32 v25, v4, s[0:1] scale_offset
	global_load_b32 v27, v5, s[0:1] scale_offset
	s_wait_xcnt 0x1
	v_add_nc_u32_e32 v4, 0xfffffd00, v1
	s_wait_xcnt 0x0
	v_add_nc_u32_e32 v5, 0xfffffe00, v1
	global_load_b32 v29, v4, s[0:1] scale_offset
	s_wait_xcnt 0x0
	v_add_nc_u32_e32 v4, 0xffffff00, v1
	s_clause 0x2
	global_load_b32 v31, v5, s[0:1] scale_offset
	global_load_b32 v33, v4, s[0:1] scale_offset
	;; [unrolled: 1-line block ×3, first 2 shown]
	s_wait_xcnt 0x1
	ds_load_2addr_b64 v[4:7], v16 offset1:1
	ds_load_2addr_b64 v[8:11], v16 offset0:2 offset1:3
	ds_load_2addr_b64 v[12:15], v16 offset0:4 offset1:5
	ds_load_2addr_b64 v[16:19], v16 offset0:6 offset1:7
	s_wait_xcnt 0x0
	v_add_nc_u32_e32 v1, 0x800, v1
	s_wait_dscnt 0x3
	v_readfirstlane_b32 s6, v4
	v_readfirstlane_b32 s7, v6
	s_wait_dscnt 0x2
	v_readfirstlane_b32 s12, v8
	v_dual_mov_b32 v20, v5 :: v_dual_mov_b32 v26, v11
	s_sub_f32 s6, s6, s3
	s_sub_f32 s7, s7, s3
	;; [unrolled: 1-line block ×3, first 2 shown]
	v_readfirstlane_b32 s13, v10
	s_mul_f32 s18, s6, 0x3fb8aa3b
	s_mul_f32 s19, s7, 0x3fb8aa3b
	;; [unrolled: 1-line block ×3, first 2 shown]
	s_wait_dscnt 0x1
	v_readfirstlane_b32 s14, v12
	s_xor_b32 s26, s18, 0x80000000
	s_rndne_f32 s27, s18
	s_fmamk_f32 s26, s6, 0x3fb8aa3b, s26
	s_cmp_nlt_f32 s6, 0xc2ce8ed0
	s_rndne_f32 s28, s19
	s_sub_f32 s18, s18, s27
	s_fmamk_f32 s26, s6, 0x32a5705f, s26
	s_cvt_i32_f32 s27, s27
	s_cselect_b32 vcc_lo, -1, 0
	s_cmp_ngt_f32 s6, 0x42b17218
	s_add_f32 s18, s18, s26
	s_sub_f32 s36, s19, s28
	s_cvt_i32_f32 s28, s28
	s_rndne_f32 s29, s20
	v_s_exp_f32 s18, s18
	s_sub_f32 s13, s13, s3
	s_sub_f32 s14, s14, s3
	s_sub_f32 s37, s20, s29
	s_cvt_i32_f32 s29, s29
	s_mul_f32 s21, s13, 0x3fb8aa3b
	s_mul_f32 s22, s14, 0x3fb8aa3b
	v_readfirstlane_b32 s15, v14
	v_ldexp_f32 v4, s18, s27
	s_wait_dscnt 0x0
	v_mov_b32_e32 v32, v17
	s_rndne_f32 s30, s21
	s_rndne_f32 s31, s22
	s_sub_f32 s15, s15, s3
	v_cndmask_b32_e32 v4, 0, v4, vcc_lo
	s_cselect_b32 vcc_lo, -1, 0
	s_xor_b32 s6, s19, 0x80000000
	s_cmp_nlt_f32 s7, 0xc2ce8ed0
	s_fmamk_f32 s6, s7, 0x3fb8aa3b, s6
	v_cndmask_b32_e32 v4, 0x7f800000, v4, vcc_lo
	s_sub_f32 s38, s21, s30
	s_cselect_b32 vcc_lo, -1, 0
	s_fmamk_f32 s6, s7, 0x32a5705f, s6
	s_cmp_ngt_f32 s7, 0x42b17218
	s_cvt_i32_f32 s30, s30
	s_sub_f32 s39, s22, s31
	s_add_f32 s6, s36, s6
	s_cvt_i32_f32 s31, s31
	s_mul_f32 s23, s15, 0x3fb8aa3b
	v_readfirstlane_b32 s16, v16
	v_s_exp_f32 s6, s6
	v_readfirstlane_b32 s17, v18
	s_rndne_f32 s33, s23
	v_mov_b32_e32 v22, v7
	s_sub_f32 s16, s16, s3
	v_mov_b32_e32 v34, v19
	s_sub_f32 s40, s23, s33
	s_cvt_i32_f32 s33, s33
	v_ldexp_f32 v5, s6, s28
	s_mul_f32 s24, s16, 0x3fb8aa3b
	s_sub_f32 s17, s17, s3
	v_dual_mov_b32 v24, v9 :: v_dual_mov_b32 v28, v13
	s_delay_alu instid0(VALU_DEP_2)
	v_dual_mov_b32 v30, v15 :: v_dual_cndmask_b32 v5, 0, v5
	s_cselect_b32 vcc_lo, -1, 0
	s_xor_b32 s6, s20, 0x80000000
	s_cmp_nlt_f32 s12, 0xc2ce8ed0
	s_fmamk_f32 s6, s12, 0x3fb8aa3b, s6
	v_cndmask_b32_e32 v6, 0x7f800000, v5, vcc_lo
	s_rndne_f32 s34, s24
	s_cselect_b32 vcc_lo, -1, 0
	s_fmamk_f32 s6, s12, 0x32a5705f, s6
	s_cmp_ngt_f32 s12, 0x42b17218
	s_sub_f32 s41, s24, s34
	s_cvt_i32_f32 s34, s34
	s_add_f32 s6, s37, s6
	s_mul_f32 s25, s17, 0x3fb8aa3b
	s_delay_alu instid0(SALU_CYCLE_2) | instskip(NEXT) | instid1(SALU_CYCLE_2)
	v_s_exp_f32 s6, s6
	s_rndne_f32 s35, s25
	s_delay_alu instid0(SALU_CYCLE_3) | instskip(SKIP_2) | instid1(TRANS32_DEP_1)
	s_sub_f32 s42, s25, s35
	s_cvt_i32_f32 s35, s35
	v_nop
	v_ldexp_f32 v5, s6, s29
	s_delay_alu instid0(VALU_DEP_1)
	v_cndmask_b32_e32 v5, 0, v5, vcc_lo
	s_cselect_b32 vcc_lo, -1, 0
	s_xor_b32 s6, s21, 0x80000000
	s_cmp_nlt_f32 s13, 0xc2ce8ed0
	s_fmamk_f32 s6, s13, 0x3fb8aa3b, s6
	v_cndmask_b32_e32 v8, 0x7f800000, v5, vcc_lo
	s_cselect_b32 vcc_lo, -1, 0
	s_delay_alu instid0(SALU_CYCLE_1) | instskip(SKIP_1) | instid1(SALU_CYCLE_2)
	s_fmamk_f32 s6, s13, 0x32a5705f, s6
	s_cmp_ngt_f32 s13, 0x42b17218
	s_add_f32 s6, s38, s6
	s_delay_alu instid0(SALU_CYCLE_3) | instskip(SKIP_1) | instid1(TRANS32_DEP_1)
	v_s_exp_f32 s6, s6
	v_nop
	v_ldexp_f32 v5, s6, s30
	s_delay_alu instid0(VALU_DEP_1)
	v_cndmask_b32_e32 v5, 0, v5, vcc_lo
	s_cselect_b32 vcc_lo, -1, 0
	s_xor_b32 s6, s22, 0x80000000
	s_cmp_nlt_f32 s14, 0xc2ce8ed0
	s_fmamk_f32 s6, s14, 0x3fb8aa3b, s6
	v_cndmask_b32_e32 v10, 0x7f800000, v5, vcc_lo
	s_cselect_b32 vcc_lo, -1, 0
	s_delay_alu instid0(SALU_CYCLE_1) | instskip(SKIP_1) | instid1(SALU_CYCLE_2)
	s_fmamk_f32 s6, s14, 0x32a5705f, s6
	s_cmp_ngt_f32 s14, 0x42b17218
	s_add_f32 s6, s39, s6
	s_delay_alu instid0(SALU_CYCLE_3) | instskip(SKIP_1) | instid1(TRANS32_DEP_1)
	v_s_exp_f32 s6, s6
	;; [unrolled: 16-line block ×4, first 2 shown]
	v_nop
	v_ldexp_f32 v5, s6, s34
	s_delay_alu instid0(VALU_DEP_1) | instskip(SKIP_4) | instid1(SALU_CYCLE_3)
	v_cndmask_b32_e32 v5, 0, v5, vcc_lo
	s_cselect_b32 vcc_lo, -1, 0
	s_xor_b32 s6, s25, 0x80000000
	s_cmp_nlt_f32 s17, 0xc2ce8ed0
	s_fmamk_f32 s6, s17, 0x3fb8aa3b, s6
	s_fmamk_f32 s6, s17, 0x32a5705f, s6
	s_delay_alu instid0(SALU_CYCLE_3) | instskip(NEXT) | instid1(SALU_CYCLE_3)
	s_add_f32 s6, s42, s6
	v_s_exp_f32 s6, s6
	s_wait_loadcnt 0x7
	v_pk_fma_f32 v[2:3], v[4:5], v[20:21], v[2:3] op_sel_hi:[0,1,1]
	v_cndmask_b32_e32 v4, 0x7f800000, v5, vcc_lo
	s_delay_alu instid0(TRANS32_DEP_1)
	v_ldexp_f32 v5, s6, s35
	s_cselect_b32 vcc_lo, -1, 0
	s_cmp_ngt_f32 s17, 0x42b17218
	s_wait_loadcnt 0x6
	v_pk_fma_f32 v[2:3], v[6:7], v[22:23], v[2:3] op_sel_hi:[0,1,1]
	v_cndmask_b32_e32 v5, 0, v5, vcc_lo
	s_cselect_b32 vcc_lo, -1, 0
	s_add_co_i32 s4, s4, 8
	s_wait_loadcnt 0x5
	v_pk_fma_f32 v[2:3], v[8:9], v[24:25], v[2:3] op_sel_hi:[0,1,1]
	s_add_co_i32 s5, s5, 64
	v_cndmask_b32_e32 v6, 0x7f800000, v5, vcc_lo
	s_cmp_eq_u32 s2, s4
	s_wait_loadcnt 0x4
	v_pk_fma_f32 v[2:3], v[10:11], v[26:27], v[2:3] op_sel_hi:[0,1,1]
	s_wait_loadcnt 0x3
	s_delay_alu instid0(VALU_DEP_1) | instskip(SKIP_1) | instid1(VALU_DEP_1)
	v_pk_fma_f32 v[2:3], v[12:13], v[28:29], v[2:3] op_sel_hi:[0,1,1]
	s_wait_loadcnt 0x2
	v_pk_fma_f32 v[2:3], v[14:15], v[30:31], v[2:3] op_sel_hi:[0,1,1]
	s_wait_loadcnt 0x1
	s_delay_alu instid0(VALU_DEP_1) | instskip(SKIP_1) | instid1(VALU_DEP_1)
	v_pk_fma_f32 v[2:3], v[4:5], v[32:33], v[2:3] op_sel_hi:[0,1,1]
	s_wait_loadcnt 0x0
	v_pk_fma_f32 v[2:3], v[6:7], v[34:35], v[2:3] op_sel_hi:[0,1,1]
	s_cbranch_scc0 .LBB26_24
; %bb.25:
	s_and_b32 s4, s10, 7
	s_delay_alu instid0(SALU_CYCLE_1)
	s_cmp_eq_u32 s4, 0
	s_cbranch_scc0 .LBB26_28
	s_branch .LBB26_30
.LBB26_26:
	v_mov_b32_e32 v1, 0x7fc00000
	s_branch .LBB26_31
.LBB26_27:
	v_mov_b64_e32 v[2:3], 0
	s_mov_b32 s2, 0
	s_and_b32 s4, s10, 7
	s_delay_alu instid0(SALU_CYCLE_1)
	s_cmp_eq_u32 s4, 0
	s_cbranch_scc1 .LBB26_30
.LBB26_28:
	v_lshl_or_b32 v1, s2, 8, v0
	s_lshl_b32 s2, s2, 3
	s_delay_alu instid0(SALU_CYCLE_1)
	s_add_co_i32 s2, s2, 0
.LBB26_29:                              ; =>This Inner Loop Header: Depth=1
	global_load_b32 v5, v1, s[0:1] scale_offset
	s_wait_xcnt 0x0
	v_dual_mov_b32 v4, s2 :: v_dual_add_nc_u32 v1, 0x100, v1
	ds_load_b64 v[6:7], v4
	s_wait_dscnt 0x0
	v_readfirstlane_b32 s5, v6
	s_sub_f32 s5, s5, s3
	s_delay_alu instid0(SALU_CYCLE_3) | instskip(NEXT) | instid1(SALU_CYCLE_3)
	s_mul_f32 s6, s5, 0x3fb8aa3b
	s_xor_b32 s7, s6, 0x80000000
	s_rndne_f32 s10, s6
	s_fmamk_f32 s7, s5, 0x3fb8aa3b, s7
	s_cmp_nlt_f32 s5, 0xc2ce8ed0
	s_delay_alu instid0(SALU_CYCLE_1) | instskip(NEXT) | instid1(SALU_CYCLE_1)
	s_sub_f32 s6, s6, s10
	s_fmamk_f32 s7, s5, 0x32a5705f, s7
	s_cselect_b32 vcc_lo, -1, 0
	s_cmp_ngt_f32 s5, 0x42b17218
	s_delay_alu instid0(SALU_CYCLE_1) | instskip(SKIP_1) | instid1(SALU_CYCLE_2)
	s_add_f32 s6, s6, s7
	s_cvt_i32_f32 s7, s10
	v_s_exp_f32 s6, s6
	v_nop
	s_delay_alu instid0(TRANS32_DEP_1) | instid1(SALU_CYCLE_1)
	v_ldexp_f32 v4, s6, s7
	s_delay_alu instid0(VALU_DEP_1) | instskip(SKIP_3) | instid1(VALU_DEP_1)
	v_dual_cndmask_b32 v6, 0, v4, vcc_lo :: v_dual_mov_b32 v4, v7
	s_cselect_b32 vcc_lo, -1, 0
	s_add_co_i32 s4, s4, -1
	s_add_co_i32 s2, s2, 8
	v_cndmask_b32_e32 v6, 0x7f800000, v6, vcc_lo
	s_cmp_lg_u32 s4, 0
	s_wait_loadcnt 0x0
	s_delay_alu instid0(VALU_DEP_1)
	v_pk_fma_f32 v[2:3], v[6:7], v[4:5], v[2:3] op_sel_hi:[0,1,1]
	s_cbranch_scc1 .LBB26_29
.LBB26_30:
	s_delay_alu instid0(VALU_DEP_1) | instskip(NEXT) | instid1(VALU_DEP_1)
	v_div_scale_f32 v1, null, v2, v2, v3
	v_rcp_f32_e32 v4, v1
	v_nop
	s_delay_alu instid0(TRANS32_DEP_1) | instskip(NEXT) | instid1(VALU_DEP_1)
	v_fma_f32 v5, -v1, v4, 1.0
	v_fmac_f32_e32 v4, v5, v4
	v_div_scale_f32 v5, vcc_lo, v3, v2, v3
	s_delay_alu instid0(VALU_DEP_1) | instskip(NEXT) | instid1(VALU_DEP_1)
	v_mul_f32_e32 v6, v5, v4
	v_fma_f32 v7, -v1, v6, v5
	s_delay_alu instid0(VALU_DEP_1) | instskip(NEXT) | instid1(VALU_DEP_1)
	v_fmac_f32_e32 v6, v7, v4
	v_fma_f32 v1, -v1, v6, v5
	s_delay_alu instid0(VALU_DEP_1) | instskip(NEXT) | instid1(VALU_DEP_1)
	v_div_fmas_f32 v1, v1, v4, v6
	v_div_fixup_f32 v1, v1, v2, v3
.LBB26_31:
	s_lshl_b32 s0, s11, 8
	s_delay_alu instid0(SALU_CYCLE_1) | instskip(NEXT) | instid1(SALU_CYCLE_1)
	s_ashr_i32 s1, s0, 31
	s_lshl_b64 s[0:1], s[0:1], 2
	s_delay_alu instid0(SALU_CYCLE_1)
	s_add_nc_u64 s[0:1], s[8:9], s[0:1]
	global_store_b32 v0, v1, s[0:1] scale_offset
	s_endpgm
	.section	.rodata,"a",@progbits
	.p2align	6, 0x0
	.amdhsa_kernel _ZL26flash_attn_combine_resultsILi256EEvPKfPK15HIP_vector_typeIfLj2EEPfi
		.amdhsa_group_segment_fixed_size 0
		.amdhsa_private_segment_fixed_size 0
		.amdhsa_kernarg_size 288
		.amdhsa_user_sgpr_count 2
		.amdhsa_user_sgpr_dispatch_ptr 0
		.amdhsa_user_sgpr_queue_ptr 0
		.amdhsa_user_sgpr_kernarg_segment_ptr 1
		.amdhsa_user_sgpr_dispatch_id 0
		.amdhsa_user_sgpr_kernarg_preload_length 0
		.amdhsa_user_sgpr_kernarg_preload_offset 0
		.amdhsa_user_sgpr_private_segment_size 0
		.amdhsa_wavefront_size32 1
		.amdhsa_uses_dynamic_stack 0
		.amdhsa_enable_private_segment 0
		.amdhsa_system_sgpr_workgroup_id_x 1
		.amdhsa_system_sgpr_workgroup_id_y 1
		.amdhsa_system_sgpr_workgroup_id_z 1
		.amdhsa_system_sgpr_workgroup_info 0
		.amdhsa_system_vgpr_workitem_id 0
		.amdhsa_next_free_vgpr 36
		.amdhsa_next_free_sgpr 43
		.amdhsa_named_barrier_count 0
		.amdhsa_reserve_vcc 1
		.amdhsa_float_round_mode_32 0
		.amdhsa_float_round_mode_16_64 0
		.amdhsa_float_denorm_mode_32 3
		.amdhsa_float_denorm_mode_16_64 3
		.amdhsa_fp16_overflow 0
		.amdhsa_memory_ordered 1
		.amdhsa_forward_progress 1
		.amdhsa_inst_pref_size 29
		.amdhsa_round_robin_scheduling 0
		.amdhsa_exception_fp_ieee_invalid_op 0
		.amdhsa_exception_fp_denorm_src 0
		.amdhsa_exception_fp_ieee_div_zero 0
		.amdhsa_exception_fp_ieee_overflow 0
		.amdhsa_exception_fp_ieee_underflow 0
		.amdhsa_exception_fp_ieee_inexact 0
		.amdhsa_exception_int_div_zero 0
	.end_amdhsa_kernel
	.section	.text._ZL26flash_attn_combine_resultsILi256EEvPKfPK15HIP_vector_typeIfLj2EEPfi,"axG",@progbits,_ZL26flash_attn_combine_resultsILi256EEvPKfPK15HIP_vector_typeIfLj2EEPfi,comdat
.Lfunc_end26:
	.size	_ZL26flash_attn_combine_resultsILi256EEvPKfPK15HIP_vector_typeIfLj2EEPfi, .Lfunc_end26-_ZL26flash_attn_combine_resultsILi256EEvPKfPK15HIP_vector_typeIfLj2EEPfi
                                        ; -- End function
	.set _ZL26flash_attn_combine_resultsILi256EEvPKfPK15HIP_vector_typeIfLj2EEPfi.num_vgpr, 36
	.set _ZL26flash_attn_combine_resultsILi256EEvPKfPK15HIP_vector_typeIfLj2EEPfi.num_agpr, 0
	.set _ZL26flash_attn_combine_resultsILi256EEvPKfPK15HIP_vector_typeIfLj2EEPfi.numbered_sgpr, 43
	.set _ZL26flash_attn_combine_resultsILi256EEvPKfPK15HIP_vector_typeIfLj2EEPfi.num_named_barrier, 0
	.set _ZL26flash_attn_combine_resultsILi256EEvPKfPK15HIP_vector_typeIfLj2EEPfi.private_seg_size, 0
	.set _ZL26flash_attn_combine_resultsILi256EEvPKfPK15HIP_vector_typeIfLj2EEPfi.uses_vcc, 1
	.set _ZL26flash_attn_combine_resultsILi256EEvPKfPK15HIP_vector_typeIfLj2EEPfi.uses_flat_scratch, 0
	.set _ZL26flash_attn_combine_resultsILi256EEvPKfPK15HIP_vector_typeIfLj2EEPfi.has_dyn_sized_stack, 0
	.set _ZL26flash_attn_combine_resultsILi256EEvPKfPK15HIP_vector_typeIfLj2EEPfi.has_recursion, 0
	.set _ZL26flash_attn_combine_resultsILi256EEvPKfPK15HIP_vector_typeIfLj2EEPfi.has_indirect_call, 0
	.section	.AMDGPU.csdata,"",@progbits
; Kernel info:
; codeLenInByte = 3596
; TotalNumSgprs: 45
; NumVgprs: 36
; ScratchSize: 0
; MemoryBound: 0
; FloatMode: 240
; IeeeMode: 1
; LDSByteSize: 0 bytes/workgroup (compile time only)
; SGPRBlocks: 0
; VGPRBlocks: 2
; NumSGPRsForWavesPerEU: 45
; NumVGPRsForWavesPerEU: 36
; NamedBarCnt: 0
; Occupancy: 16
; WaveLimiterHint : 0
; COMPUTE_PGM_RSRC2:SCRATCH_EN: 0
; COMPUTE_PGM_RSRC2:USER_SGPR: 2
; COMPUTE_PGM_RSRC2:TRAP_HANDLER: 0
; COMPUTE_PGM_RSRC2:TGID_X_EN: 1
; COMPUTE_PGM_RSRC2:TGID_Y_EN: 1
; COMPUTE_PGM_RSRC2:TGID_Z_EN: 1
; COMPUTE_PGM_RSRC2:TIDIG_COMP_CNT: 0
	.section	.text._ZL18flash_attn_ext_vecILi256ELi1EL9ggml_type1ELS0_1ELb1EEvPKcS2_S2_S2_S2_PKiPfP15HIP_vector_typeIfLj2EEffffjfiS6_IjLj3EEiiiiiiiiiiiliiliiiiil,"axG",@progbits,_ZL18flash_attn_ext_vecILi256ELi1EL9ggml_type1ELS0_1ELb1EEvPKcS2_S2_S2_S2_PKiPfP15HIP_vector_typeIfLj2EEffffjfiS6_IjLj3EEiiiiiiiiiiiliiliiiiil,comdat
	.globl	_ZL18flash_attn_ext_vecILi256ELi1EL9ggml_type1ELS0_1ELb1EEvPKcS2_S2_S2_S2_PKiPfP15HIP_vector_typeIfLj2EEffffjfiS6_IjLj3EEiiiiiiiiiiiliiliiiiil ; -- Begin function _ZL18flash_attn_ext_vecILi256ELi1EL9ggml_type1ELS0_1ELb1EEvPKcS2_S2_S2_S2_PKiPfP15HIP_vector_typeIfLj2EEffffjfiS6_IjLj3EEiiiiiiiiiiiliiliiiiil
	.p2align	8
	.type	_ZL18flash_attn_ext_vecILi256ELi1EL9ggml_type1ELS0_1ELb1EEvPKcS2_S2_S2_S2_PKiPfP15HIP_vector_typeIfLj2EEffffjfiS6_IjLj3EEiiiiiiiiiiiliiliiiiil,@function
_ZL18flash_attn_ext_vecILi256ELi1EL9ggml_type1ELS0_1ELb1EEvPKcS2_S2_S2_S2_PKiPfP15HIP_vector_typeIfLj2EEffffjfiS6_IjLj3EEiiiiiiiiiiiliiliiiiil: ; @_ZL18flash_attn_ext_vecILi256ELi1EL9ggml_type1ELS0_1ELb1EEvPKcS2_S2_S2_S2_PKiPfP15HIP_vector_typeIfLj2EEffffjfiS6_IjLj3EEiiiiiiiiiiiliiliiiiil
; %bb.0:
	s_clause 0x2
	s_load_b64 s[24:25], s[0:1], 0x64
	s_load_b64 s[28:29], s[0:1], 0x80
	;; [unrolled: 1-line block ×3, first 2 shown]
	s_bfe_u32 s6, ttmp6, 0x40014
	s_lshr_b32 s5, ttmp7, 16
	s_add_co_i32 s6, s6, 1
	s_bfe_u32 s7, ttmp6, 0x40008
	s_mul_i32 s6, s5, s6
	s_getreg_b32 s27, hwreg(HW_REG_IB_STS2, 6, 4)
	s_add_co_i32 s7, s7, s6
	s_clause 0x1
	s_load_b128 s[20:23], s[0:1], 0x40
	s_load_b64 s[30:31], s[0:1], 0x50
	v_mov_b32_e32 v49, 1.0
	s_mov_b32 s39, 0
	s_wait_kmcnt 0x0
	s_cvt_f32_u32 s4, s25
	s_sub_co_i32 s8, 0, s25
	s_delay_alu instid0(SALU_CYCLE_2) | instskip(SKIP_1) | instid1(TRANS32_DEP_1)
	v_rcp_iflag_f32_e32 v1, s4
	v_nop
	v_readfirstlane_b32 s4, v1
	s_mul_f32 s4, s4, 0x4f7ffffe
	s_delay_alu instid0(SALU_CYCLE_3) | instskip(NEXT) | instid1(SALU_CYCLE_3)
	s_cvt_u32_f32 s4, s4
	s_mul_i32 s8, s8, s4
	s_delay_alu instid0(SALU_CYCLE_1) | instskip(NEXT) | instid1(SALU_CYCLE_1)
	s_mul_hi_u32 s8, s4, s8
	s_add_co_i32 s4, s4, s8
	s_cmp_eq_u32 s27, 0
	s_cselect_b32 s5, s5, s7
	s_delay_alu instid0(SALU_CYCLE_1) | instskip(NEXT) | instid1(SALU_CYCLE_1)
	s_mul_hi_u32 s4, s5, s4
	s_mul_i32 s6, s4, s25
	s_add_co_i32 s7, s4, 1
	s_sub_co_i32 s6, s5, s6
	s_delay_alu instid0(SALU_CYCLE_1)
	s_sub_co_i32 s8, s6, s25
	s_cmp_ge_u32 s6, s25
	s_cselect_b32 s4, s7, s4
	s_cselect_b32 s6, s8, s6
	s_add_co_i32 s7, s4, 1
	s_cmp_ge_u32 s6, s25
	s_cselect_b32 s26, s7, s4
	s_abs_i32 s4, s29
	s_abs_i32 s9, s25
	s_cvt_f32_u32 s6, s4
	s_sub_co_i32 s7, 0, s4
	s_xor_b32 s8, s25, s29
	s_delay_alu instid0(SALU_CYCLE_1) | instskip(SKIP_2) | instid1(TRANS32_DEP_1)
	v_rcp_iflag_f32_e32 v1, s6
	s_ashr_i32 s8, s8, 31
	v_nop
	v_readfirstlane_b32 s6, v1
	s_mul_f32 s6, s6, 0x4f7ffffe
	s_delay_alu instid0(SALU_CYCLE_3) | instskip(NEXT) | instid1(SALU_CYCLE_3)
	s_cvt_u32_f32 s6, s6
	s_mul_i32 s7, s7, s6
	s_delay_alu instid0(SALU_CYCLE_1) | instskip(NEXT) | instid1(SALU_CYCLE_1)
	s_mul_hi_u32 s7, s6, s7
	s_add_co_i32 s6, s6, s7
	s_mul_i32 s7, s26, s25
	s_mul_hi_u32 s6, s9, s6
	s_sub_co_i32 s29, s5, s7
	s_mul_i32 s10, s6, s4
	s_add_co_i32 s7, s6, 1
	s_sub_co_i32 s5, s9, s10
	s_delay_alu instid0(SALU_CYCLE_1)
	s_sub_co_i32 s9, s5, s4
	s_cmp_ge_u32 s5, s4
	s_cselect_b32 s6, s7, s6
	s_cselect_b32 s5, s9, s5
	s_add_co_i32 s7, s6, 1
	s_cmp_ge_u32 s5, s4
	s_cselect_b32 s4, s7, s6
	s_abs_i32 s2, s2
	s_xor_b32 s4, s4, s8
	s_delay_alu instid0(SALU_CYCLE_1)
	s_sub_co_i32 s36, s4, s8
	s_cvt_f32_u32 s4, s2
	s_abs_i32 s34, s36
	s_cmp_le_f32 s21, 0
	s_cvt_f32_u32 s5, s34
	v_rcp_iflag_f32_e32 v1, s4
	s_delay_alu instid0(SALU_CYCLE_2) | instskip(NEXT) | instid1(TRANS32_DEP_2)
	v_rcp_iflag_f32_e32 v2, s5
	v_readfirstlane_b32 s21, v1
	s_delay_alu instid0(TRANS32_DEP_1)
	v_readfirstlane_b32 s37, v2
	s_cbranch_scc1 .LBB27_2
; %bb.1:
	v_sub_co_u32 v1, s4, s29, s30
	s_and_b32 s6, s4, exec_lo
	s_cselect_b32 s6, s22, s23
	s_add_co_i32 s7, s29, 1
	v_readfirstlane_b32 s5, v1
	s_lshl_b32 s5, s5, 1
	s_delay_alu instid0(SALU_CYCLE_1) | instskip(SKIP_4) | instid1(SALU_CYCLE_3)
	s_or_b32 s5, s5, 1
	s_and_b32 s4, s4, exec_lo
	s_cselect_b32 s4, s7, s5
	s_cmp_neq_f32 s6, 1.0
	s_cvt_f32_i32 s4, s4
	s_cselect_b32 s5, s4, 1.0
	s_delay_alu instid0(SALU_CYCLE_1) | instskip(SKIP_1) | instid1(SALU_CYCLE_1)
	s_cmp_neq_f32 s5, 0
	s_cselect_b32 s4, s6, 1.0
	v_cvt_f64_f32_e64 v[2:3], |s4|
	s_delay_alu instid0(VALU_DEP_1) | instskip(SKIP_1) | instid1(VALU_DEP_1)
	v_frexp_exp_i32_f64_e32 v1, v[2:3]
	v_frexp_mant_f32_e64 v2, |s4|
	v_readfirstlane_b32 s6, v2
	s_cmp_lt_f32 s6, 0x3f2aaaab
	s_cselect_b32 vcc_lo, -1, 0
	s_delay_alu instid0(SALU_CYCLE_1) | instskip(SKIP_1) | instid1(SALU_CYCLE_1)
	s_and_b32 s7, vcc_lo, exec_lo
	s_cselect_b32 s7, 2.0, 1.0
	s_mul_f32 s6, s6, s7
	s_delay_alu instid0(SALU_CYCLE_3) | instskip(SKIP_1) | instid1(SALU_CYCLE_2)
	s_add_f32 s7, s6, 1.0
	s_add_f32 s9, s6, -1.0
	v_s_rcp_f32 s8, s7
	s_add_f32 s12, s7, -1.0
	v_subrev_co_ci_u32_e64 v1, null, 0, v1, vcc_lo
	s_delay_alu instid0(SALU_CYCLE_2) | instskip(NEXT) | instid1(TRANS32_DEP_1)
	s_sub_f32 s6, s6, s12
	s_mul_f32 s10, s9, s8
	v_cvt_f32_i32_e32 v1, v1
	s_delay_alu instid0(SALU_CYCLE_2) | instskip(NEXT) | instid1(SALU_CYCLE_3)
	s_mul_f32 s11, s7, s10
	v_dual_mov_b32 v3, s9 :: v_dual_mov_b32 v4, s11
	s_xor_b32 s13, s11, 0x80000000
	s_delay_alu instid0(SALU_CYCLE_1) | instskip(NEXT) | instid1(SALU_CYCLE_3)
	s_fmac_f32 s13, s10, s7
	s_fmac_f32 s13, s10, s6
	s_delay_alu instid0(SALU_CYCLE_3) | instskip(SKIP_2) | instid1(SALU_CYCLE_1)
	s_add_f32 s6, s11, s13
	v_mov_b32_e32 v6, s13
	s_mov_b32 s11, 0x3e76c4e1
	s_sub_f32 s7, s9, s6
	v_dual_mov_b32 v2, s6 :: v_dual_mov_b32 v7, s6
	s_delay_alu instid0(SALU_CYCLE_2) | instskip(NEXT) | instid1(VALU_DEP_1)
	v_mov_b32_e32 v5, s7
	v_pk_add_f32 v[2:3], v[2:3], v[4:5] neg_lo:[0,1] neg_hi:[0,1]
	s_delay_alu instid0(VALU_DEP_1) | instskip(NEXT) | instid1(VALU_DEP_1)
	v_pk_add_f32 v[2:3], v[2:3], v[6:7] neg_lo:[0,1] neg_hi:[0,1]
	v_readfirstlane_b32 s6, v3
	s_delay_alu instid0(VALU_DEP_2) | instskip(SKIP_1) | instid1(SALU_CYCLE_3)
	v_readfirstlane_b32 s9, v2
	s_add_f32 s6, s9, s6
	s_add_f32 s6, s7, s6
	s_delay_alu instid0(SALU_CYCLE_3) | instskip(NEXT) | instid1(SALU_CYCLE_3)
	s_mul_f32 s7, s8, s6
	s_add_f32 s6, s10, s7
	s_delay_alu instid0(SALU_CYCLE_3) | instskip(SKIP_1) | instid1(SALU_CYCLE_2)
	s_sub_f32 s8, s6, s10
	s_mul_f32 s9, s6, s6
	s_sub_f32 s10, s7, s8
	s_delay_alu instid0(SALU_CYCLE_2) | instskip(NEXT) | instid1(SALU_CYCLE_1)
	s_xor_b32 s7, s9, 0x80000000
	s_fmac_f32 s7, s6, s6
	s_delay_alu instid0(SALU_CYCLE_1) | instskip(NEXT) | instid1(SALU_CYCLE_3)
	s_add_f32 s8, s10, s10
	s_fmac_f32 s7, s6, s8
	s_delay_alu instid0(SALU_CYCLE_3) | instskip(NEXT) | instid1(SALU_CYCLE_3)
	s_add_f32 s8, s9, s7
	s_fmaak_f32 s11, s8, s11, 0x3e91f4c4
	s_sub_f32 s9, s8, s9
	s_delay_alu instid0(SALU_CYCLE_2) | instskip(NEXT) | instid1(SALU_CYCLE_2)
	s_fmaak_f32 s11, s8, s11, 0x3ecccdef
	s_sub_f32 s14, s7, s9
	s_delay_alu instid0(SALU_CYCLE_2) | instskip(NEXT) | instid1(SALU_CYCLE_3)
	s_mul_f32 s12, s8, s11
	s_xor_b32 s13, s12, 0x80000000
	s_delay_alu instid0(SALU_CYCLE_1) | instskip(NEXT) | instid1(SALU_CYCLE_3)
	s_fmac_f32 s13, s8, s11
	s_fmac_f32 s13, s14, s11
	s_delay_alu instid0(SALU_CYCLE_3) | instskip(NEXT) | instid1(SALU_CYCLE_3)
	s_add_f32 s9, s12, s13
	s_sub_f32 s7, s9, s12
	s_add_f32 s11, s9, 0x3f2aaaaa
	s_delay_alu instid0(SALU_CYCLE_2) | instskip(NEXT) | instid1(SALU_CYCLE_2)
	s_sub_f32 s7, s13, s7
	s_add_f32 s12, s11, 0xbf2aaaaa
	s_delay_alu instid0(SALU_CYCLE_2) | instskip(NEXT) | instid1(SALU_CYCLE_2)
	s_add_f32 s7, s7, 0x31739010
	s_sub_f32 s9, s9, s12
	s_delay_alu instid0(SALU_CYCLE_2) | instskip(NEXT) | instid1(SALU_CYCLE_2)
	v_mov_b64_e32 v[2:3], s[6:7]
	v_mov_b64_e32 v[4:5], s[8:9]
	s_delay_alu instid0(VALU_DEP_1) | instskip(SKIP_2) | instid1(VALU_DEP_3)
	v_pk_mul_f32 v[6:7], v[2:3], v[4:5]
	v_pk_add_f32 v[2:3], v[2:3], v[4:5]
	v_mov_b32_e32 v9, s11
	v_xor_b32_e32 v8, 0x80000000, v6
	s_delay_alu instid0(VALU_DEP_3) | instskip(NEXT) | instid1(VALU_DEP_2)
	v_mov_b32_e32 v7, v3
	v_fmac_f32_e64 v8, s8, s6
	s_delay_alu instid0(VALU_DEP_1) | instskip(NEXT) | instid1(VALU_DEP_1)
	v_fmac_f32_e64 v8, s8, s10
	v_fmac_f32_e64 v8, s14, s6
	s_delay_alu instid0(VALU_DEP_1) | instskip(NEXT) | instid1(VALU_DEP_1)
	v_pk_add_f32 v[4:5], v[6:7], v[8:9]
	v_dual_mov_b32 v2, v5 :: v_dual_sub_f32 v7, s11, v5
	v_mul_f32_e32 v12, 0x3f317218, v1
	s_delay_alu instid0(VALU_DEP_2) | instskip(NEXT) | instid1(VALU_DEP_3)
	v_pk_mul_f32 v[10:11], v[4:5], v[2:3]
	v_add_f32_e32 v3, v3, v7
	s_delay_alu instid0(VALU_DEP_3) | instskip(NEXT) | instid1(VALU_DEP_3)
	v_xor_b32_e32 v7, 0x80000000, v12
	v_xor_b32_e32 v2, 0x80000000, v10
	s_delay_alu instid0(VALU_DEP_2) | instskip(NEXT) | instid1(VALU_DEP_2)
	v_dual_sub_f32 v6, v4, v6 :: v_dual_fmac_f32 v7, 0x3f317218, v1
	v_fmac_f32_e32 v2, v4, v5
	s_delay_alu instid0(VALU_DEP_2) | instskip(NEXT) | instid1(VALU_DEP_2)
	v_sub_f32_e32 v6, v8, v6
	v_fmac_f32_e32 v2, v4, v3
	s_delay_alu instid0(VALU_DEP_1) | instskip(SKIP_3) | instid1(VALU_DEP_2)
	v_fmac_f32_e32 v2, v6, v5
	v_fmamk_f32 v4, v1, 0xb102e308, v7
	v_ldexp_f32 v5, s6, 1
	v_ldexp_f32 v1, s10, 1
	v_dual_add_f32 v13, v10, v2 :: v_dual_mov_b32 v11, v5
	s_delay_alu instid0(VALU_DEP_1) | instskip(SKIP_1) | instid1(VALU_DEP_2)
	v_pk_add_f32 v[6:7], v[12:13], v[4:5]
	v_dual_mov_b32 v8, v13 :: v_dual_mov_b32 v3, v13
	v_dual_mov_b32 v9, v7 :: v_dual_mov_b32 v5, v6
	v_mov_b32_e32 v14, v7
	s_delay_alu instid0(VALU_DEP_2) | instskip(NEXT) | instid1(VALU_DEP_1)
	v_pk_add_f32 v[8:9], v[8:9], v[10:11] neg_lo:[0,1] neg_hi:[0,1]
	v_pk_add_f32 v[2:3], v[2:3], v[8:9] neg_lo:[0,1] neg_hi:[0,1]
	s_delay_alu instid0(VALU_DEP_1) | instskip(NEXT) | instid1(VALU_DEP_1)
	v_add_f32_e32 v1, v1, v2
	v_add_f32_e32 v13, v1, v3
	s_delay_alu instid0(VALU_DEP_1) | instskip(SKIP_1) | instid1(VALU_DEP_2)
	v_pk_add_f32 v[2:3], v[6:7], v[12:13]
	v_pk_add_f32 v[8:9], v[6:7], v[12:13] neg_lo:[0,1] neg_hi:[0,1]
	v_mov_b32_e32 v9, v3
	s_delay_alu instid0(VALU_DEP_1) | instskip(SKIP_2) | instid1(VALU_DEP_3)
	v_pk_add_f32 v[10:11], v[4:5], v[8:9]
	v_pk_add_f32 v[4:5], v[4:5], v[8:9] neg_lo:[0,1] neg_hi:[0,1]
	v_dual_mov_b32 v16, v3 :: v_dual_mov_b32 v5, v6
	v_dual_mov_b32 v12, v11 :: v_dual_mov_b32 v17, v11
	s_delay_alu instid0(VALU_DEP_3) | instskip(NEXT) | instid1(VALU_DEP_2)
	v_readfirstlane_b32 s6, v4
	v_pk_add_f32 v[8:9], v[12:13], v[6:7] neg_lo:[0,1] neg_hi:[0,1]
	s_delay_alu instid0(VALU_DEP_2) | instskip(NEXT) | instid1(VALU_DEP_2)
	v_dual_mov_b32 v4, v13 :: v_dual_mov_b32 v10, s6
	v_dual_mov_b32 v15, v8 :: v_dual_mov_b32 v1, v8
	s_delay_alu instid0(VALU_DEP_1) | instskip(NEXT) | instid1(VALU_DEP_2)
	v_pk_add_f32 v[6:7], v[16:17], v[14:15] neg_lo:[0,1] neg_hi:[0,1]
	v_pk_add_f32 v[2:3], v[2:3], v[0:1] neg_lo:[0,1] neg_hi:[0,1]
	v_mov_b32_e32 v2, s6
	s_delay_alu instid0(VALU_DEP_3) | instskip(NEXT) | instid1(VALU_DEP_1)
	v_pk_add_f32 v[4:5], v[4:5], v[6:7] neg_lo:[0,1] neg_hi:[0,1]
	v_pk_add_f32 v[2:3], v[2:3], v[4:5]
	s_delay_alu instid0(VALU_DEP_1) | instskip(NEXT) | instid1(VALU_DEP_2)
	v_readfirstlane_b32 s7, v2
	v_mov_b32_e32 v6, v3
	s_delay_alu instid0(VALU_DEP_1) | instskip(NEXT) | instid1(VALU_DEP_3)
	v_pk_add_f32 v[6:7], v[2:3], v[6:7]
	v_mov_b32_e32 v2, s7
	s_delay_alu instid0(VALU_DEP_2) | instskip(SKIP_1) | instid1(VALU_DEP_2)
	v_pk_add_f32 v[8:9], v[12:13], v[6:7]
	v_mov_b32_e32 v5, v6
	v_readfirstlane_b32 s8, v8
	s_delay_alu instid0(VALU_DEP_1) | instskip(NEXT) | instid1(VALU_DEP_1)
	v_mov_b32_e32 v3, s8
	v_pk_add_f32 v[2:3], v[2:3], v[10:11] neg_lo:[0,1] neg_hi:[0,1]
	s_delay_alu instid0(VALU_DEP_1) | instskip(NEXT) | instid1(VALU_DEP_2)
	v_readfirstlane_b32 s9, v2
	v_pk_add_f32 v[2:3], v[4:5], v[2:3] neg_lo:[0,1] neg_hi:[0,1]
	s_sub_f32 s7, s7, s9
	s_delay_alu instid0(VALU_DEP_1) | instskip(NEXT) | instid1(SALU_CYCLE_2)
	v_readfirstlane_b32 s9, v2
	s_sub_f32 s6, s6, s7
	v_readfirstlane_b32 s7, v3
	s_delay_alu instid0(SALU_CYCLE_2) | instskip(NEXT) | instid1(SALU_CYCLE_3)
	s_add_f32 s6, s9, s6
	s_add_f32 s6, s6, s7
	s_delay_alu instid0(SALU_CYCLE_3) | instskip(NEXT) | instid1(SALU_CYCLE_3)
	s_add_f32 s7, s8, s6
	s_mul_f32 s9, s5, s7
	s_sub_f32 s8, s7, s8
	s_delay_alu instid0(SALU_CYCLE_2) | instskip(NEXT) | instid1(SALU_CYCLE_2)
	s_xor_b32 s10, s9, 0x80000000
	s_sub_f32 s6, s6, s8
	s_fmac_f32 s10, s5, s7
	s_delay_alu instid0(SALU_CYCLE_3) | instskip(SKIP_1) | instid1(SALU_CYCLE_2)
	s_fmac_f32 s10, s5, s6
	v_cmp_class_f32_e64 s6, s9, 0x204
	s_add_f32 s7, s9, s10
	s_and_b32 s6, s6, exec_lo
	s_delay_alu instid0(SALU_CYCLE_2) | instskip(SKIP_1) | instid1(SALU_CYCLE_1)
	s_sub_f32 s6, s7, s9
	s_cselect_b32 s7, s9, s7
	s_and_b32 s8, s7, 0x7fffffff
	s_delay_alu instid0(SALU_CYCLE_1) | instskip(SKIP_1) | instid1(SALU_CYCLE_2)
	s_sub_f32 s6, s10, s6
	s_cmp_neq_f32 s8, 0x7f800000
	s_cselect_b32 s6, s6, 0
	s_cmp_eq_f32 s7, 0x42b17218
	s_cselect_b32 s8, 0x37000000, 0
	s_delay_alu instid0(SALU_CYCLE_1) | instskip(SKIP_1) | instid1(SALU_CYCLE_2)
	s_sub_f32 s7, s7, s8
	s_add_f32 s6, s8, s6
	s_mul_f32 s9, s7, 0x3fb8aa3b
	s_delay_alu instid0(SALU_CYCLE_3) | instskip(SKIP_3) | instid1(SALU_CYCLE_1)
	s_xor_b32 s10, s9, 0x80000000
	s_rndne_f32 s11, s9
	s_fmamk_f32 s10, s7, 0x3fb8aa3b, s10
	s_cmp_nlt_f32 s7, 0xc2ce8ed0
	s_sub_f32 s9, s9, s11
	s_delay_alu instid0(SALU_CYCLE_1)
	s_fmamk_f32 s10, s7, 0x32a5705f, s10
	s_cselect_b32 vcc_lo, -1, 0
	s_cmp_ngt_f32 s7, 0x42b17218
	s_trunc_f32 s7, s5
	s_add_f32 s9, s9, s10
	s_cvt_i32_f32 s10, s11
	s_delay_alu instid0(SALU_CYCLE_2)
	v_s_exp_f32 s9, s9
	v_nop
	s_delay_alu instid0(TRANS32_DEP_1) | instid1(SALU_CYCLE_1)
	v_ldexp_f32 v1, s9, s10
	s_mul_f32 s9, s5, 0.5
	s_delay_alu instid0(VALU_DEP_1) | instskip(SKIP_3) | instid1(VALU_DEP_1)
	v_cndmask_b32_e32 v1, 0, v1, vcc_lo
	s_cselect_b32 vcc_lo, -1, 0
	s_cmp_eq_f32 s7, s5
	s_trunc_f32 s10, s9
	v_cndmask_b32_e32 v1, 0x7f800000, v1, vcc_lo
	s_cselect_b32 s11, -1, 0
	s_delay_alu instid0(SALU_CYCLE_1) | instskip(NEXT) | instid1(VALU_DEP_1)
	s_cmp_neq_f32 s10, s9
	v_fma_f32 v2, s6, v1, v1
	v_cmp_class_f32_e64 vcc_lo, v1, 0x204
	s_cselect_b32 s8, -1, 0
	s_delay_alu instid0(SALU_CYCLE_1)
	s_and_b32 s6, s11, s8
	v_cndmask_b32_e32 v1, v2, v1, vcc_lo
	s_and_b32 s8, s6, exec_lo
	s_cselect_b32 s8, s4, 1.0
	s_cmp_eq_f32 s7, s5
	v_cmp_class_f32_e64 s7, s4, 0x204
	v_bfi_b32 v1, 0x7fffffff, v1, s8
	s_cselect_b32 vcc_lo, -1, 0
	s_cmp_lt_f32 s4, 0
	s_delay_alu instid0(VALU_DEP_1) | instskip(SKIP_2) | instid1(VALU_DEP_1)
	v_cndmask_b32_e32 v2, 0x7fc00000, v1, vcc_lo
	s_cselect_b32 vcc_lo, -1, 0
	s_cmp_eq_f32 s4, 0
	v_cndmask_b32_e32 v1, v1, v2, vcc_lo
	s_cselect_b32 s8, -1, 0
	s_delay_alu instid0(SALU_CYCLE_1) | instskip(SKIP_2) | instid1(SALU_CYCLE_1)
	s_or_b32 vcc_lo, s8, s7
	s_cmp_lt_f32 s5, 0
	s_cselect_b32 s5, -1, 0
	s_xor_b32 s5, s5, s8
	s_delay_alu instid0(SALU_CYCLE_1)
	s_and_b32 s5, s5, exec_lo
	s_cselect_b32 s5, 0, 0x7f800000
	s_and_b32 s6, s6, exec_lo
	s_cselect_b32 s6, s4, 0
	s_cmp_o_f32 s4, s4
	v_mov_b32_e32 v2, s6
	s_delay_alu instid0(VALU_DEP_1) | instskip(NEXT) | instid1(VALU_DEP_1)
	v_bfi_b32 v2, 0x7fffffff, s5, v2
	v_cndmask_b32_e32 v1, v1, v2, vcc_lo
	s_cselect_b32 vcc_lo, -1, 0
	s_delay_alu instid0(VALU_DEP_1)
	v_cndmask_b32_e32 v49, 0x7fc00000, v1, vcc_lo
.LBB27_2:
	s_clause 0x1
	s_load_b96 s[40:42], s[0:1], 0x70
	s_load_b512 s[4:19], s[0:1], 0x0
	s_bfe_u32 s22, ttmp6, 0x4000c
	v_and_b32_e32 v46, 0x3ff, v0
	s_add_co_i32 s22, s22, 1
	s_and_b32 s23, ttmp6, 15
	s_mul_i32 s22, ttmp9, s22
	s_delay_alu instid0(VALU_DEP_1) | instskip(SKIP_3) | instid1(VALU_DEP_1)
	v_dual_mov_b32 v50, 0 :: v_dual_lshlrev_b32 v44, 2, v46
	s_add_co_i32 s23, s23, s22
	s_cmp_eq_u32 s27, 0
	s_cselect_b32 s30, ttmp9, s23
	v_and_b32_e32 v45, 28, v44
	s_delay_alu instid0(VALU_DEP_1)
	v_lshlrev_b32_e32 v1, 3, v45
	s_wait_kmcnt 0x0
	s_mul_i32 s22, s26, s42
	s_mul_i32 s23, s40, s30
	;; [unrolled: 1-line block ×3, first 2 shown]
	s_add_co_i32 s22, s22, s23
	s_delay_alu instid0(SALU_CYCLE_1) | instskip(NEXT) | instid1(SALU_CYCLE_1)
	s_add_co_i32 s22, s22, s33
	s_ashr_i32 s23, s22, 31
	s_cmp_eq_u64 s[14:15], 0
	s_add_nc_u64 s[4:5], s[4:5], s[22:23]
	s_clause 0x7
	global_load_b128 v[22:25], v1, s[4:5] offset:16
	global_load_b128 v[30:33], v1, s[4:5]
	global_load_b128 v[14:17], v1, s[4:5] offset:272
	global_load_b128 v[26:29], v1, s[4:5] offset:256
	;; [unrolled: 1-line block ×6, first 2 shown]
	s_cbranch_scc1 .LBB27_4
; %bb.3:
	s_wait_xcnt 0x0
	s_load_b32 s4, s[0:1], 0xd0
	s_wait_kmcnt 0x0
	s_mul_i32 s4, s4, s26
	s_delay_alu instid0(SALU_CYCLE_1)
	s_add_co_i32 s4, s4, s30
	s_load_b32 s28, s[14:15], s4 offset:0x0 scale_offset
.LBB27_4:
	v_bfe_u32 v47, v0, 10, 10
	s_wait_xcnt 0x0
	s_bfe_u32 s5, ttmp6, 0x40010
	s_and_b32 s4, ttmp7, 0xffff
	s_add_co_i32 s5, s5, 1
	s_bfe_u32 s14, ttmp6, 0x40004
	v_lshlrev_b32_e32 v34, 5, v47
	s_mul_i32 s5, s4, s5
	v_mbcnt_lo_u32_b32 v48, -1, 0
	s_add_co_i32 s14, s14, s5
	s_cmp_eq_u32 s27, 0
	v_add_nc_u32_e32 v42, v34, v46
	s_cselect_b32 s33, s4, s14
	s_mov_b32 s35, 0
	s_lshl_b32 s42, s33, 7
	s_add_nc_u64 s[14:15], s[0:1], 0xd0
	v_lshlrev_b32_e32 v43, 1, v42
	s_wait_kmcnt 0x0
	s_cmp_ge_i32 s42, s28
	s_cbranch_scc1 .LBB27_56
; %bb.5:
	s_mul_f32 s4, s37, 0x4f7ffffe
	s_mul_f32 s5, s21, 0x4f7ffffe
	s_sub_co_i32 s21, 0, s34
	s_sub_co_i32 s22, 0, s2
	s_cvt_u32_f32 s23, s4
	s_cvt_u32_f32 s5, s5
	s_cvt_f16_f32 s20, s20
	s_abs_i32 s38, s29
	s_mul_i32 s21, s21, s23
	s_mul_i32 s22, s22, s5
	s_mul_hi_u32 s21, s23, s21
	s_mul_hi_u32 s27, s5, s22
	s_add_co_i32 s22, s23, s21
	s_mov_b32 s23, s39
	s_and_b32 s20, 0xffff, s20
	s_ashr_i32 s46, s36, 31
	s_mul_u64 s[44:45], s[38:39], s[22:23]
	s_mul_i32 s48, s20, 0x10001
	s_clause 0x1
	s_load_b64 s[36:37], s[0:1], 0x8c
	s_load_b128 s[20:23], s[0:1], 0x98
	s_wait_loadcnt 0x6
	v_cvt_pk_f16_f32 v0, v30, v31
	v_cvt_pk_f16_f32 v1, v32, v33
	s_abs_i32 s4, s26
	s_add_co_i32 s40, s5, s27
	s_mov_b32 s5, s39
	v_pk_mul_f16 v79, v0, s48
	v_and_b32_e32 v0, 0x78, v46
	s_mov_b32 s41, s39
	s_ashr_i32 s43, s29, 31
	s_mul_u64 s[40:41], s[4:5], s[40:41]
	s_mul_i32 s5, s45, s34
	v_add_nc_u32_e32 v32, v34, v0
	s_sub_co_i32 s5, s38, s5
	s_ashr_i32 s27, s26, 31
	s_wait_loadcnt 0x1
	v_cvt_pk_f16_f32 v2, v2, v3
	s_xor_b32 s39, s43, s46
	s_add_co_i32 s38, s45, 1
	s_sub_co_i32 s40, s5, s34
	s_wait_kmcnt 0x0
	v_mul_lo_u32 v0, v32, s36
	s_cmp_ge_u32 s5, s34
	v_cvt_pk_f16_f32 v14, v14, v15
	s_cselect_b32 s38, s38, s45
	s_cselect_b32 s5, s40, s5
	s_add_co_i32 s40, s38, 1
	v_pk_mul_f16 v93, v2, s48
	s_cmp_ge_u32 s5, s34
	v_cvt_pk_f16_f32 v6, v6, v7
	s_cselect_b32 s5, s40, s38
	v_cvt_pk_f16_f32 v3, v4, v5
	v_add_nc_u32_e32 v2, s36, v0
	v_pk_mul_f16 v80, v1, s48
	v_pk_mul_f16 v85, v14, s48
	s_xor_b32 s5, s5, s39
	v_dual_lshlrev_b32 v1, 3, v46 :: v_dual_bitop2_b32 v14, 7, v46 bitop3:0x40
	v_add_nc_u32_e32 v4, s36, v2
	s_sub_co_i32 s5, s5, s39
	s_clause 0x1
	s_load_b64 s[44:45], s[0:1], 0xa8
	s_load_b64 s[46:47], s[0:1], 0xc8
	s_mul_i32 s34, s41, s2
	s_mul_i32 s38, s5, s37
	;; [unrolled: 1-line block ×3, first 2 shown]
	s_sub_co_i32 s4, s4, s34
	v_cvt_pk_f16_f32 v15, v16, v17
	v_cvt_pk_f16_f32 v7, v8, v9
	s_wait_loadcnt 0x0
	v_cvt_pk_f16_f32 v8, v10, v11
	v_pk_mul_f16 v89, v6, s48
	v_dual_add_nc_u32 v6, s36, v4 :: v_dual_bitop2_b32 v36, 56, v1 bitop3:0x40
	s_ashr_i32 s39, s38, 31
	s_ashr_i32 s41, s40, 31
	s_sub_co_i32 s5, s4, s2
	s_cmp_ge_u32 s4, s2
	v_pk_mul_f16 v86, v15, s48
	s_cselect_b32 s4, s5, s4
	v_pk_mul_f16 v91, v8, s48
	v_dual_lshrrev_b32 v15, 3, v46 :: v_dual_ashrrev_i32 v1, 31, v0
	v_add_nc_u32_e32 v8, s36, v6
	s_sub_co_i32 s5, s4, s2
	s_cmp_ge_u32 s4, s2
	v_cvt_pk_f16_f32 v9, v12, v13
	s_cselect_b32 s2, s5, s4
	v_add_nc_u32_e32 v10, s36, v8
	s_xor_b32 s2, s2, s27
	s_mul_u64 s[4:5], s[20:21], s[26:27]
	s_sub_co_i32 s20, s2, s27
	v_cvt_pk_f16_f32 v16, v18, v19
	v_cvt_pk_f16_f32 v17, v20, v21
	v_pk_mul_f16 v90, v7, s48
	v_pk_mul_f16 v92, v9, s48
	s_ashr_i32 s21, s20, 31
	v_dual_ashrrev_i32 v7, 31, v6 :: v_dual_ashrrev_i32 v9, 31, v8
	v_dual_add_nc_u32 v12, s36, v10 :: v_dual_add_nc_u32 v19, v34, v15
	v_ashrrev_i32_e32 v11, 31, v10
	s_wait_kmcnt 0x0
	s_mul_u64 s[20:21], s[46:47], s[20:21]
	s_mul_i32 s2, s3, s30
	s_add_nc_u64 s[4:5], s[6:7], s[4:5]
	s_mul_u64 s[6:7], s[44:45], s[26:27]
	s_add_nc_u64 s[20:21], s[10:11], s[20:21]
	s_ashr_i32 s3, s2, 31
	v_cvt_pk_f16_f32 v22, v22, v23
	v_cvt_pk_f16_f32 v23, v24, v25
	;; [unrolled: 1-line block ×3, first 2 shown]
	v_pk_mul_f16 v88, v17, s48
	v_dual_ashrrev_i32 v13, 31, v12 :: v_dual_bitop2_b32 v17, v34, v15 bitop3:0x54
	v_dual_add_nc_u32 v15, 4, v19 :: v_dual_add_nc_u32 v20, 8, v19
	s_add_nc_u64 s[6:7], s[8:9], s[6:7]
	s_add_nc_u64 s[2:3], s[20:21], s[2:3]
	s_lshl_b32 s34, s42, 1
	s_add_nc_u64 s[6:7], s[6:7], s[40:41]
	s_add_nc_u64 s[20:21], s[2:3], s[34:35]
	s_mul_i32 s34, s22, s42
	v_cvt_pk_f16_f32 v24, v26, v27
	v_pk_mul_f16 v82, v23, s48
	v_pk_mul_f16 v84, v25, s48
	s_add_nc_u64 s[40:41], s[4:5], s[38:39]
	s_add_nc_u64 s[38:39], s[6:7], s[34:35]
	v_cmp_eq_u32_e64 s2, 7, v14
	v_cmp_eq_u32_e64 s3, 0, v14
	v_cmp_eq_u32_e64 s4, 1, v14
	v_cmp_eq_u32_e64 s5, 2, v14
	v_cmp_eq_u32_e64 s6, 3, v14
	v_cmp_eq_u32_e64 s7, 4, v14
	v_cmp_eq_u32_e64 s8, 5, v14
	v_cmp_eq_u32_e64 s9, 6, v14
	v_add_nc_u32_e32 v14, s36, v12
	v_mul_lo_u32 v18, v15, s22
	v_dual_add_nc_u32 v15, 12, v19 :: v_dual_bitop2_b32 v21, 16, v17 bitop3:0x54
	v_dual_add_nc_u32 v23, 20, v19 :: v_dual_add_nc_u32 v25, 24, v19
	v_add_nc_u32_e32 v27, 28, v19
	v_pk_mul_f16 v81, v22, s48
	v_pk_mul_f16 v83, v24, s48
	;; [unrolled: 1-line block ×3, first 2 shown]
	v_mul_lo_u32 v16, v17, s22
	v_mul_lo_u32 v20, v20, s22
	v_mul_lo_u32 v22, v15, s22
	v_mul_lo_u32 v24, v21, s22
	v_mul_lo_u32 v26, v23, s22
	v_mul_lo_u32 v28, v25, s22
	v_mul_lo_u32 v30, v27, s22
	v_pk_mul_f16 v94, v3, s48
	v_dual_ashrrev_i32 v3, 31, v2 :: v_dual_ashrrev_i32 v5, 31, v4
	v_dual_ashrrev_i32 v15, 31, v14 :: v_dual_lshlrev_b32 v67, 1, v17
	v_dual_ashrrev_i32 v17, 31, v16 :: v_dual_lshlrev_b32 v68, 1, v19
	v_dual_ashrrev_i32 v19, 31, v18 :: v_dual_ashrrev_i32 v21, 31, v20
	v_dual_ashrrev_i32 v23, 31, v22 :: v_dual_ashrrev_i32 v25, 31, v24
	;; [unrolled: 1-line block ×3, first 2 shown]
	v_dual_mov_b32 v70, 0xfeffffff :: v_dual_ashrrev_i32 v31, 31, v30
	v_dual_mov_b32 v51, 0 :: v_dual_lshlrev_b32 v32, 1, v32
	v_dual_lshlrev_b32 v34, 1, v36 :: v_dual_mov_b32 v52, 0
	v_dual_mov_b32 v50, 0 :: v_dual_mov_b32 v54, 0
	v_dual_mov_b32 v53, 0 :: v_dual_mov_b32 v56, 0
	;; [unrolled: 1-line block ×8, first 2 shown]
	s_mul_i32 s34, s36, s42
	s_cmp_lg_u64 s[10:11], 0
	s_add_nc_u64 s[10:11], s[40:41], s[34:35]
	s_cselect_b32 s23, -1, 0
	s_mov_b32 s27, 0xbbbac73d
                                        ; implicit-def: $vgpr69
.LBB27_6:                               ; =>This Inner Loop Header: Depth=1
	v_dual_mov_b32 v71, v37 :: v_dual_lshlrev_b32 v36, 2, v45
	v_xor_b32_e32 v35, 4, v48
	v_and_b32_e32 v33, 24, v48
	s_delay_alu instid0(VALU_DEP_3) | instskip(NEXT) | instid1(VALU_DEP_2)
	v_add_nc_u64_e32 v[38:39], s[10:11], v[36:37]
	v_add_nc_u32_e32 v33, 8, v33
	s_delay_alu instid0(VALU_DEP_2) | instskip(NEXT) | instid1(VALU_DEP_2)
	v_add_nc_u64_e32 v[40:41], v[38:39], v[0:1]
	v_cmp_lt_i32_e32 vcc_lo, v35, v33
	v_cndmask_b32_e32 v35, v48, v35, vcc_lo
	global_load_b128 v[72:75], v[40:41], off
	s_wait_loadcnt 0x0
	;;#ASMSTART
	v_dot2_f32_f16 v71, v72, v79, v71
	;;#ASMEND
	;;#ASMSTART
	v_dot2_f32_f16 v71, v73, v80, v71
	;;#ASMEND
	;;#ASMSTART
	v_dot2_f32_f16 v71, v74, v81, v71
	;;#ASMEND
	;;#ASMSTART
	v_dot2_f32_f16 v71, v75, v82, v71
	;;#ASMEND
	global_load_b128 v[72:75], v[40:41], off offset:128
	s_wait_loadcnt 0x0
	;;#ASMSTART
	v_dot2_f32_f16 v71, v72, v83, v71
	;;#ASMEND
	;;#ASMSTART
	v_dot2_f32_f16 v71, v73, v84, v71
	;;#ASMEND
	;; [unrolled: 3-line block ×4, first 2 shown]
	global_load_b128 v[72:75], v[40:41], off offset:256
	s_wait_loadcnt 0x0
	;;#ASMSTART
	v_dot2_f32_f16 v71, v72, v87, v71
	;;#ASMEND
	;;#ASMSTART
	v_dot2_f32_f16 v71, v73, v88, v71
	;;#ASMEND
	;; [unrolled: 3-line block ×3, first 2 shown]
	v_lshlrev_b32_e32 v35, 2, v35
	;;#ASMSTART
	v_dot2_f32_f16 v71, v75, v90, v71
	;;#ASMEND
	global_load_b128 v[72:75], v[40:41], off offset:384
	s_wait_loadcnt 0x0
	;;#ASMSTART
	v_dot2_f32_f16 v71, v72, v91, v71
	;;#ASMEND
	;;#ASMSTART
	v_dot2_f32_f16 v71, v73, v92, v71
	;;#ASMEND
	;; [unrolled: 3-line block ×4, first 2 shown]
	v_xor_b32_e32 v40, 2, v48
	ds_bpermute_b32 v36, v35, v71
	v_xor_b32_e32 v41, 1, v48
	v_cmp_lt_i32_e32 vcc_lo, v40, v33
	v_cndmask_b32_e32 v40, v48, v40, vcc_lo
	s_delay_alu instid0(VALU_DEP_3) | instskip(SKIP_2) | instid1(VALU_DEP_1)
	v_cmp_lt_i32_e32 vcc_lo, v41, v33
	s_wait_dscnt 0x0
	v_dual_cndmask_b32 v33, v48, v41 :: v_dual_add_f32 v36, v71, v36
	v_dual_lshlrev_b32 v75, 2, v33 :: v_dual_lshlrev_b32 v74, 2, v40
	ds_bpermute_b32 v40, v74, v36
	s_wait_dscnt 0x0
	v_add_f32_e32 v36, v36, v40
                                        ; implicit-def: $vgpr40
	ds_bpermute_b32 v33, v75, v36
	s_wait_dscnt 0x0
	v_add_f32_e32 v36, v36, v33
	s_delay_alu instid0(VALU_DEP_1) | instskip(SKIP_1) | instid1(SALU_CYCLE_1)
	v_cmp_ngt_f32_e64 s34, 0x3f200000, |v36|
	s_and_saveexec_b32 s37, s34
	s_xor_b32 s34, exec_lo, s37
	s_cbranch_execz .LBB27_8
; %bb.7:                                ;   in Loop: Header=BB27_6 Depth=1
	v_add_f32_e64 v33, |v36|, |v36|
	s_delay_alu instid0(VALU_DEP_1) | instskip(SKIP_1) | instid1(VALU_DEP_2)
	v_mul_f32_e32 v40, 0x3fb8aa3b, v33
	v_cmp_ngt_f32_e32 vcc_lo, 0xc2ce8ed0, v33
	v_rndne_f32_e32 v41, v40
	v_fma_f32 v71, 0x3fb8aa3b, v33, -v40
	s_delay_alu instid0(VALU_DEP_2) | instskip(NEXT) | instid1(VALU_DEP_2)
	v_sub_f32_e32 v40, v40, v41
	v_fmac_f32_e32 v71, 0x32a5705f, v33
	v_cvt_i32_f32_e32 v41, v41
	s_delay_alu instid0(VALU_DEP_2) | instskip(NEXT) | instid1(VALU_DEP_1)
	v_add_f32_e32 v40, v40, v71
	v_exp_f32_e32 v40, v40
	v_nop
	s_delay_alu instid0(TRANS32_DEP_1) | instskip(NEXT) | instid1(VALU_DEP_1)
	v_ldexp_f32 v40, v40, v41
	v_cndmask_b32_e32 v40, 0, v40, vcc_lo
	v_cmp_nlt_f32_e32 vcc_lo, 0x42b17218, v33
	s_delay_alu instid0(VALU_DEP_2) | instskip(NEXT) | instid1(VALU_DEP_1)
	v_cndmask_b32_e32 v33, 0x7f800000, v40, vcc_lo
	v_add_f32_e32 v33, 1.0, v33
	s_delay_alu instid0(VALU_DEP_1) | instskip(SKIP_1) | instid1(TRANS32_DEP_1)
	v_rcp_f32_e32 v33, v33
	v_nop
	v_fma_f32 v40, v33, -2.0, 1.0
.LBB27_8:                               ;   in Loop: Header=BB27_6 Depth=1
	s_and_not1_saveexec_b32 s34, s34
	s_cbranch_execz .LBB27_10
; %bb.9:                                ;   in Loop: Header=BB27_6 Depth=1
	v_mul_f32_e32 v33, v36, v36
	s_delay_alu instid0(VALU_DEP_1) | instskip(NEXT) | instid1(VALU_DEP_1)
	v_fmaak_f32 v40, s27, v33, 0x3ca908c9
	v_fmaak_f32 v40, v33, v40, 0xbd5c1c4e
	s_delay_alu instid0(VALU_DEP_1) | instskip(NEXT) | instid1(VALU_DEP_1)
	v_fmaak_f32 v40, v33, v40, 0x3e088382
	v_fmaak_f32 v40, v33, v40, 0xbeaaaa99
	s_delay_alu instid0(VALU_DEP_1) | instskip(NEXT) | instid1(VALU_DEP_1)
	v_mul_f32_e64 v40, |v36|, v40
	v_fma_f32 v40, v33, v40, |v36|
.LBB27_10:                              ;   in Loop: Header=BB27_6 Depth=1
	s_or_b32 exec_lo, exec_lo, s34
	v_mov_b32_e32 v33, v37
	s_delay_alu instid0(VALU_DEP_2) | instskip(SKIP_1) | instid1(VALU_DEP_2)
	v_bfi_b32 v36, 0x7fffffff, v40, v36
	s_and_not1_b32 vcc_lo, exec_lo, s23
	v_add_nc_u64_e32 v[40:41], s[20:21], v[32:33]
	s_delay_alu instid0(VALU_DEP_2)
	v_mul_f32_e32 v33, s31, v36
	s_cbranch_vccnz .LBB27_12
; %bb.11:                               ;   in Loop: Header=BB27_6 Depth=1
	global_load_u16 v36, v[40:41], off
	s_wait_loadcnt 0x0
	v_fma_mix_f32 v33, v49, v36, v33 op_sel_hi:[0,1,0]
.LBB27_12:                              ;   in Loop: Header=BB27_6 Depth=1
	v_add_nc_u64_e32 v[72:73], v[38:39], v[2:3]
	v_mov_b32_e32 v71, v37
	global_load_b128 v[96:99], v[72:73], off
	s_wait_loadcnt 0x0
	;;#ASMSTART
	v_dot2_f32_f16 v71, v96, v79, v71
	;;#ASMEND
	;;#ASMSTART
	v_dot2_f32_f16 v71, v97, v80, v71
	;;#ASMEND
	;;#ASMSTART
	v_dot2_f32_f16 v71, v98, v81, v71
	;;#ASMEND
	;;#ASMSTART
	v_dot2_f32_f16 v71, v99, v82, v71
	;;#ASMEND
	global_load_b128 v[96:99], v[72:73], off offset:128
	s_wait_loadcnt 0x0
	;;#ASMSTART
	v_dot2_f32_f16 v71, v96, v83, v71
	;;#ASMEND
	;;#ASMSTART
	v_dot2_f32_f16 v71, v97, v84, v71
	;;#ASMEND
	;;#ASMSTART
	v_dot2_f32_f16 v71, v98, v85, v71
	;;#ASMEND
	;;#ASMSTART
	v_dot2_f32_f16 v71, v99, v86, v71
	;;#ASMEND
	global_load_b128 v[96:99], v[72:73], off offset:256
	;; [unrolled: 14-line block ×3, first 2 shown]
	s_wait_loadcnt 0x0
	;;#ASMSTART
	v_dot2_f32_f16 v71, v96, v91, v71
	;;#ASMEND
	;;#ASMSTART
	v_dot2_f32_f16 v71, v97, v92, v71
	;;#ASMEND
	;; [unrolled: 3-line block ×4, first 2 shown]
	ds_bpermute_b32 v36, v35, v71
	s_wait_dscnt 0x0
	v_add_f32_e32 v36, v71, v36
	ds_bpermute_b32 v71, v74, v36
	s_wait_dscnt 0x0
	v_add_f32_e32 v36, v36, v71
	;; [unrolled: 3-line block ×3, first 2 shown]
                                        ; implicit-def: $vgpr71
	s_delay_alu instid0(VALU_DEP_1) | instskip(SKIP_1) | instid1(SALU_CYCLE_1)
	v_cmp_ngt_f32_e64 s34, 0x3f200000, |v36|
	s_and_saveexec_b32 s37, s34
	s_xor_b32 s34, exec_lo, s37
	s_cbranch_execz .LBB27_14
; %bb.13:                               ;   in Loop: Header=BB27_6 Depth=1
	v_add_f32_e64 v71, |v36|, |v36|
	s_delay_alu instid0(VALU_DEP_1) | instskip(SKIP_1) | instid1(VALU_DEP_2)
	v_mul_f32_e32 v72, 0x3fb8aa3b, v71
	v_cmp_ngt_f32_e32 vcc_lo, 0xc2ce8ed0, v71
	v_rndne_f32_e32 v73, v72
	v_fma_f32 v76, 0x3fb8aa3b, v71, -v72
	s_delay_alu instid0(VALU_DEP_2) | instskip(NEXT) | instid1(VALU_DEP_2)
	v_sub_f32_e32 v72, v72, v73
	v_fmac_f32_e32 v76, 0x32a5705f, v71
	v_cvt_i32_f32_e32 v73, v73
	s_delay_alu instid0(VALU_DEP_2) | instskip(NEXT) | instid1(VALU_DEP_1)
	v_add_f32_e32 v72, v72, v76
	v_exp_f32_e32 v72, v72
	v_nop
	s_delay_alu instid0(TRANS32_DEP_1) | instskip(NEXT) | instid1(VALU_DEP_1)
	v_ldexp_f32 v72, v72, v73
	v_cndmask_b32_e32 v72, 0, v72, vcc_lo
	v_cmp_nlt_f32_e32 vcc_lo, 0x42b17218, v71
	s_delay_alu instid0(VALU_DEP_2) | instskip(NEXT) | instid1(VALU_DEP_1)
	v_cndmask_b32_e32 v71, 0x7f800000, v72, vcc_lo
	v_add_f32_e32 v71, 1.0, v71
	s_delay_alu instid0(VALU_DEP_1) | instskip(SKIP_1) | instid1(TRANS32_DEP_1)
	v_rcp_f32_e32 v71, v71
	v_nop
	v_fma_f32 v71, v71, -2.0, 1.0
.LBB27_14:                              ;   in Loop: Header=BB27_6 Depth=1
	s_and_not1_saveexec_b32 s34, s34
	s_cbranch_execz .LBB27_16
; %bb.15:                               ;   in Loop: Header=BB27_6 Depth=1
	v_mul_f32_e32 v71, v36, v36
	s_delay_alu instid0(VALU_DEP_1) | instskip(NEXT) | instid1(VALU_DEP_1)
	v_fmaak_f32 v72, s27, v71, 0x3ca908c9
	v_fmaak_f32 v72, v71, v72, 0xbd5c1c4e
	s_delay_alu instid0(VALU_DEP_1) | instskip(NEXT) | instid1(VALU_DEP_1)
	v_fmaak_f32 v72, v71, v72, 0x3e088382
	v_fmaak_f32 v72, v71, v72, 0xbeaaaa99
	s_delay_alu instid0(VALU_DEP_1) | instskip(NEXT) | instid1(VALU_DEP_1)
	v_mul_f32_e64 v72, |v36|, v72
	v_fma_f32 v71, v71, v72, |v36|
.LBB27_16:                              ;   in Loop: Header=BB27_6 Depth=1
	s_or_b32 exec_lo, exec_lo, s34
	s_delay_alu instid0(VALU_DEP_1) | instskip(SKIP_1) | instid1(VALU_DEP_1)
	v_bfi_b32 v36, 0x7fffffff, v71, v36
	s_and_not1_b32 vcc_lo, exec_lo, s23
	v_mul_f32_e32 v36, s31, v36
	s_cbranch_vccnz .LBB27_18
; %bb.17:                               ;   in Loop: Header=BB27_6 Depth=1
	global_load_u16 v71, v[40:41], off offset:2
	s_wait_loadcnt 0x0
	v_fma_mix_f32 v36, v49, v71, v36 op_sel_hi:[0,1,0]
.LBB27_18:                              ;   in Loop: Header=BB27_6 Depth=1
	v_add_nc_u64_e32 v[72:73], v[38:39], v[4:5]
	v_mov_b32_e32 v76, v37
	global_load_b128 v[96:99], v[72:73], off
	s_wait_loadcnt 0x0
	;;#ASMSTART
	v_dot2_f32_f16 v76, v96, v79, v76
	;;#ASMEND
	;;#ASMSTART
	v_dot2_f32_f16 v76, v97, v80, v76
	;;#ASMEND
	;;#ASMSTART
	v_dot2_f32_f16 v76, v98, v81, v76
	;;#ASMEND
	;;#ASMSTART
	v_dot2_f32_f16 v76, v99, v82, v76
	;;#ASMEND
	global_load_b128 v[96:99], v[72:73], off offset:128
	s_wait_loadcnt 0x0
	;;#ASMSTART
	v_dot2_f32_f16 v76, v96, v83, v76
	;;#ASMEND
	;;#ASMSTART
	v_dot2_f32_f16 v76, v97, v84, v76
	;;#ASMEND
	;;#ASMSTART
	v_dot2_f32_f16 v76, v98, v85, v76
	;;#ASMEND
	;;#ASMSTART
	v_dot2_f32_f16 v76, v99, v86, v76
	;;#ASMEND
	global_load_b128 v[96:99], v[72:73], off offset:256
	;; [unrolled: 14-line block ×3, first 2 shown]
	s_wait_loadcnt 0x0
	;;#ASMSTART
	v_dot2_f32_f16 v76, v96, v91, v76
	;;#ASMEND
	;;#ASMSTART
	v_dot2_f32_f16 v76, v97, v92, v76
	;;#ASMEND
	;; [unrolled: 3-line block ×4, first 2 shown]
	ds_bpermute_b32 v71, v35, v76
	s_wait_dscnt 0x0
	v_add_f32_e32 v71, v76, v71
	ds_bpermute_b32 v72, v74, v71
	s_wait_dscnt 0x0
	v_add_f32_e32 v71, v71, v72
	;; [unrolled: 3-line block ×3, first 2 shown]
                                        ; implicit-def: $vgpr72
	s_delay_alu instid0(VALU_DEP_1) | instskip(SKIP_1) | instid1(SALU_CYCLE_1)
	v_cmp_ngt_f32_e64 s34, 0x3f200000, |v71|
	s_and_saveexec_b32 s37, s34
	s_xor_b32 s34, exec_lo, s37
	s_cbranch_execz .LBB27_20
; %bb.19:                               ;   in Loop: Header=BB27_6 Depth=1
	v_add_f32_e64 v72, |v71|, |v71|
	s_delay_alu instid0(VALU_DEP_1) | instskip(SKIP_1) | instid1(VALU_DEP_2)
	v_mul_f32_e32 v73, 0x3fb8aa3b, v72
	v_cmp_ngt_f32_e32 vcc_lo, 0xc2ce8ed0, v72
	v_rndne_f32_e32 v76, v73
	v_fma_f32 v77, 0x3fb8aa3b, v72, -v73
	s_delay_alu instid0(VALU_DEP_2) | instskip(NEXT) | instid1(VALU_DEP_2)
	v_sub_f32_e32 v73, v73, v76
	v_fmac_f32_e32 v77, 0x32a5705f, v72
	v_cvt_i32_f32_e32 v76, v76
	s_delay_alu instid0(VALU_DEP_2) | instskip(NEXT) | instid1(VALU_DEP_1)
	v_add_f32_e32 v73, v73, v77
	v_exp_f32_e32 v73, v73
	v_nop
	s_delay_alu instid0(TRANS32_DEP_1) | instskip(NEXT) | instid1(VALU_DEP_1)
	v_ldexp_f32 v73, v73, v76
	v_cndmask_b32_e32 v73, 0, v73, vcc_lo
	v_cmp_nlt_f32_e32 vcc_lo, 0x42b17218, v72
	s_delay_alu instid0(VALU_DEP_2) | instskip(NEXT) | instid1(VALU_DEP_1)
	v_cndmask_b32_e32 v72, 0x7f800000, v73, vcc_lo
	v_add_f32_e32 v72, 1.0, v72
	s_delay_alu instid0(VALU_DEP_1) | instskip(SKIP_1) | instid1(TRANS32_DEP_1)
	v_rcp_f32_e32 v72, v72
	v_nop
	v_fma_f32 v72, v72, -2.0, 1.0
.LBB27_20:                              ;   in Loop: Header=BB27_6 Depth=1
	s_and_not1_saveexec_b32 s34, s34
	s_cbranch_execz .LBB27_22
; %bb.21:                               ;   in Loop: Header=BB27_6 Depth=1
	v_mul_f32_e32 v72, v71, v71
	s_delay_alu instid0(VALU_DEP_1) | instskip(NEXT) | instid1(VALU_DEP_1)
	v_fmaak_f32 v73, s27, v72, 0x3ca908c9
	v_fmaak_f32 v73, v72, v73, 0xbd5c1c4e
	s_delay_alu instid0(VALU_DEP_1) | instskip(NEXT) | instid1(VALU_DEP_1)
	v_fmaak_f32 v73, v72, v73, 0x3e088382
	v_fmaak_f32 v73, v72, v73, 0xbeaaaa99
	s_delay_alu instid0(VALU_DEP_1) | instskip(NEXT) | instid1(VALU_DEP_1)
	v_mul_f32_e64 v73, |v71|, v73
	v_fma_f32 v72, v72, v73, |v71|
.LBB27_22:                              ;   in Loop: Header=BB27_6 Depth=1
	s_or_b32 exec_lo, exec_lo, s34
	s_delay_alu instid0(VALU_DEP_1) | instskip(SKIP_1) | instid1(VALU_DEP_1)
	v_bfi_b32 v71, 0x7fffffff, v72, v71
	s_and_not1_b32 vcc_lo, exec_lo, s23
	v_mul_f32_e32 v71, s31, v71
	s_cbranch_vccnz .LBB27_24
; %bb.23:                               ;   in Loop: Header=BB27_6 Depth=1
	global_load_u16 v72, v[40:41], off offset:4
	s_wait_loadcnt 0x0
	v_fma_mix_f32 v71, v49, v72, v71 op_sel_hi:[0,1,0]
.LBB27_24:                              ;   in Loop: Header=BB27_6 Depth=1
	v_add_nc_u64_e32 v[72:73], v[38:39], v[6:7]
	v_mov_b32_e32 v76, v37
	global_load_b128 v[96:99], v[72:73], off
	s_wait_loadcnt 0x0
	;;#ASMSTART
	v_dot2_f32_f16 v76, v96, v79, v76
	;;#ASMEND
	;;#ASMSTART
	v_dot2_f32_f16 v76, v97, v80, v76
	;;#ASMEND
	;;#ASMSTART
	v_dot2_f32_f16 v76, v98, v81, v76
	;;#ASMEND
	;;#ASMSTART
	v_dot2_f32_f16 v76, v99, v82, v76
	;;#ASMEND
	global_load_b128 v[96:99], v[72:73], off offset:128
	s_wait_loadcnt 0x0
	;;#ASMSTART
	v_dot2_f32_f16 v76, v96, v83, v76
	;;#ASMEND
	;;#ASMSTART
	v_dot2_f32_f16 v76, v97, v84, v76
	;;#ASMEND
	;;#ASMSTART
	v_dot2_f32_f16 v76, v98, v85, v76
	;;#ASMEND
	;;#ASMSTART
	v_dot2_f32_f16 v76, v99, v86, v76
	;;#ASMEND
	global_load_b128 v[96:99], v[72:73], off offset:256
	;; [unrolled: 14-line block ×3, first 2 shown]
	s_wait_loadcnt 0x0
	;;#ASMSTART
	v_dot2_f32_f16 v76, v96, v91, v76
	;;#ASMEND
	;;#ASMSTART
	v_dot2_f32_f16 v76, v97, v92, v76
	;;#ASMEND
	;; [unrolled: 3-line block ×4, first 2 shown]
	ds_bpermute_b32 v72, v35, v76
	s_wait_dscnt 0x0
	v_add_f32_e32 v72, v76, v72
	ds_bpermute_b32 v73, v74, v72
	s_wait_dscnt 0x0
	v_add_f32_e32 v72, v72, v73
	;; [unrolled: 3-line block ×3, first 2 shown]
                                        ; implicit-def: $vgpr73
	s_delay_alu instid0(VALU_DEP_1) | instskip(SKIP_1) | instid1(SALU_CYCLE_1)
	v_cmp_ngt_f32_e64 s34, 0x3f200000, |v72|
	s_and_saveexec_b32 s37, s34
	s_xor_b32 s34, exec_lo, s37
	s_cbranch_execz .LBB27_26
; %bb.25:                               ;   in Loop: Header=BB27_6 Depth=1
	v_add_f32_e64 v73, |v72|, |v72|
	s_delay_alu instid0(VALU_DEP_1) | instskip(SKIP_1) | instid1(VALU_DEP_2)
	v_mul_f32_e32 v76, 0x3fb8aa3b, v73
	v_cmp_ngt_f32_e32 vcc_lo, 0xc2ce8ed0, v73
	v_rndne_f32_e32 v77, v76
	v_fma_f32 v78, 0x3fb8aa3b, v73, -v76
	s_delay_alu instid0(VALU_DEP_2) | instskip(NEXT) | instid1(VALU_DEP_2)
	v_sub_f32_e32 v76, v76, v77
	v_fmac_f32_e32 v78, 0x32a5705f, v73
	v_cvt_i32_f32_e32 v77, v77
	s_delay_alu instid0(VALU_DEP_2) | instskip(NEXT) | instid1(VALU_DEP_1)
	v_add_f32_e32 v76, v76, v78
	v_exp_f32_e32 v76, v76
	v_nop
	s_delay_alu instid0(TRANS32_DEP_1) | instskip(NEXT) | instid1(VALU_DEP_1)
	v_ldexp_f32 v76, v76, v77
	v_cndmask_b32_e32 v76, 0, v76, vcc_lo
	v_cmp_nlt_f32_e32 vcc_lo, 0x42b17218, v73
	s_delay_alu instid0(VALU_DEP_2) | instskip(NEXT) | instid1(VALU_DEP_1)
	v_cndmask_b32_e32 v73, 0x7f800000, v76, vcc_lo
	v_add_f32_e32 v73, 1.0, v73
	s_delay_alu instid0(VALU_DEP_1) | instskip(SKIP_1) | instid1(TRANS32_DEP_1)
	v_rcp_f32_e32 v73, v73
	v_nop
	v_fma_f32 v73, v73, -2.0, 1.0
.LBB27_26:                              ;   in Loop: Header=BB27_6 Depth=1
	s_and_not1_saveexec_b32 s34, s34
	s_cbranch_execz .LBB27_28
; %bb.27:                               ;   in Loop: Header=BB27_6 Depth=1
	v_mul_f32_e32 v73, v72, v72
	s_delay_alu instid0(VALU_DEP_1) | instskip(NEXT) | instid1(VALU_DEP_1)
	v_fmaak_f32 v76, s27, v73, 0x3ca908c9
	v_fmaak_f32 v76, v73, v76, 0xbd5c1c4e
	s_delay_alu instid0(VALU_DEP_1) | instskip(NEXT) | instid1(VALU_DEP_1)
	v_fmaak_f32 v76, v73, v76, 0x3e088382
	v_fmaak_f32 v76, v73, v76, 0xbeaaaa99
	s_delay_alu instid0(VALU_DEP_1) | instskip(NEXT) | instid1(VALU_DEP_1)
	v_mul_f32_e64 v76, |v72|, v76
	v_fma_f32 v73, v73, v76, |v72|
.LBB27_28:                              ;   in Loop: Header=BB27_6 Depth=1
	s_or_b32 exec_lo, exec_lo, s34
	s_delay_alu instid0(VALU_DEP_1) | instskip(SKIP_1) | instid1(VALU_DEP_1)
	v_bfi_b32 v72, 0x7fffffff, v73, v72
	s_and_not1_b32 vcc_lo, exec_lo, s23
	v_mul_f32_e32 v72, s31, v72
	s_cbranch_vccnz .LBB27_30
; %bb.29:                               ;   in Loop: Header=BB27_6 Depth=1
	global_load_u16 v73, v[40:41], off offset:6
	s_wait_loadcnt 0x0
	v_fma_mix_f32 v72, v49, v73, v72 op_sel_hi:[0,1,0]
.LBB27_30:                              ;   in Loop: Header=BB27_6 Depth=1
	v_add_nc_u64_e32 v[76:77], v[38:39], v[8:9]
	v_mov_b32_e32 v78, v37
	global_load_b128 v[96:99], v[76:77], off
	s_wait_loadcnt 0x0
	;;#ASMSTART
	v_dot2_f32_f16 v78, v96, v79, v78
	;;#ASMEND
	;;#ASMSTART
	v_dot2_f32_f16 v78, v97, v80, v78
	;;#ASMEND
	;;#ASMSTART
	v_dot2_f32_f16 v78, v98, v81, v78
	;;#ASMEND
	;;#ASMSTART
	v_dot2_f32_f16 v78, v99, v82, v78
	;;#ASMEND
	global_load_b128 v[96:99], v[76:77], off offset:128
	s_wait_loadcnt 0x0
	;;#ASMSTART
	v_dot2_f32_f16 v78, v96, v83, v78
	;;#ASMEND
	;;#ASMSTART
	v_dot2_f32_f16 v78, v97, v84, v78
	;;#ASMEND
	;;#ASMSTART
	v_dot2_f32_f16 v78, v98, v85, v78
	;;#ASMEND
	;;#ASMSTART
	v_dot2_f32_f16 v78, v99, v86, v78
	;;#ASMEND
	global_load_b128 v[96:99], v[76:77], off offset:256
	;; [unrolled: 14-line block ×3, first 2 shown]
	s_wait_loadcnt 0x0
	;;#ASMSTART
	v_dot2_f32_f16 v78, v96, v91, v78
	;;#ASMEND
	;;#ASMSTART
	v_dot2_f32_f16 v78, v97, v92, v78
	;;#ASMEND
	;; [unrolled: 3-line block ×4, first 2 shown]
	ds_bpermute_b32 v73, v35, v78
	s_wait_dscnt 0x0
	v_add_f32_e32 v73, v78, v73
	ds_bpermute_b32 v76, v74, v73
	s_wait_dscnt 0x0
	v_add_f32_e32 v73, v73, v76
	ds_bpermute_b32 v76, v75, v73
	s_wait_dscnt 0x0
	v_add_f32_e32 v73, v73, v76
                                        ; implicit-def: $vgpr76
	s_delay_alu instid0(VALU_DEP_1) | instskip(SKIP_1) | instid1(SALU_CYCLE_1)
	v_cmp_ngt_f32_e64 s34, 0x3f200000, |v73|
	s_and_saveexec_b32 s37, s34
	s_xor_b32 s34, exec_lo, s37
	s_cbranch_execz .LBB27_32
; %bb.31:                               ;   in Loop: Header=BB27_6 Depth=1
	v_add_f32_e64 v76, |v73|, |v73|
	s_delay_alu instid0(VALU_DEP_1) | instskip(SKIP_1) | instid1(VALU_DEP_2)
	v_mul_f32_e32 v77, 0x3fb8aa3b, v76
	v_cmp_ngt_f32_e32 vcc_lo, 0xc2ce8ed0, v76
	v_rndne_f32_e32 v78, v77
	v_fma_f32 v95, 0x3fb8aa3b, v76, -v77
	s_delay_alu instid0(VALU_DEP_2) | instskip(NEXT) | instid1(VALU_DEP_2)
	v_sub_f32_e32 v77, v77, v78
	v_fmac_f32_e32 v95, 0x32a5705f, v76
	v_cvt_i32_f32_e32 v78, v78
	s_delay_alu instid0(VALU_DEP_2) | instskip(NEXT) | instid1(VALU_DEP_1)
	v_add_f32_e32 v77, v77, v95
	v_exp_f32_e32 v77, v77
	v_nop
	s_delay_alu instid0(TRANS32_DEP_1) | instskip(NEXT) | instid1(VALU_DEP_1)
	v_ldexp_f32 v77, v77, v78
	v_cndmask_b32_e32 v77, 0, v77, vcc_lo
	v_cmp_nlt_f32_e32 vcc_lo, 0x42b17218, v76
	s_delay_alu instid0(VALU_DEP_2) | instskip(NEXT) | instid1(VALU_DEP_1)
	v_cndmask_b32_e32 v76, 0x7f800000, v77, vcc_lo
	v_add_f32_e32 v76, 1.0, v76
	s_delay_alu instid0(VALU_DEP_1) | instskip(SKIP_1) | instid1(TRANS32_DEP_1)
	v_rcp_f32_e32 v76, v76
	v_nop
	v_fma_f32 v76, v76, -2.0, 1.0
.LBB27_32:                              ;   in Loop: Header=BB27_6 Depth=1
	s_and_not1_saveexec_b32 s34, s34
	s_cbranch_execz .LBB27_34
; %bb.33:                               ;   in Loop: Header=BB27_6 Depth=1
	v_mul_f32_e32 v76, v73, v73
	s_delay_alu instid0(VALU_DEP_1) | instskip(NEXT) | instid1(VALU_DEP_1)
	v_fmaak_f32 v77, s27, v76, 0x3ca908c9
	v_fmaak_f32 v77, v76, v77, 0xbd5c1c4e
	s_delay_alu instid0(VALU_DEP_1) | instskip(NEXT) | instid1(VALU_DEP_1)
	v_fmaak_f32 v77, v76, v77, 0x3e088382
	v_fmaak_f32 v77, v76, v77, 0xbeaaaa99
	s_delay_alu instid0(VALU_DEP_1) | instskip(NEXT) | instid1(VALU_DEP_1)
	v_mul_f32_e64 v77, |v73|, v77
	v_fma_f32 v76, v76, v77, |v73|
.LBB27_34:                              ;   in Loop: Header=BB27_6 Depth=1
	s_or_b32 exec_lo, exec_lo, s34
	s_delay_alu instid0(VALU_DEP_1) | instskip(SKIP_1) | instid1(VALU_DEP_1)
	v_bfi_b32 v73, 0x7fffffff, v76, v73
	s_and_not1_b32 vcc_lo, exec_lo, s23
	v_mul_f32_e32 v73, s31, v73
	s_cbranch_vccnz .LBB27_36
; %bb.35:                               ;   in Loop: Header=BB27_6 Depth=1
	global_load_u16 v76, v[40:41], off offset:8
	s_wait_loadcnt 0x0
	v_fma_mix_f32 v73, v49, v76, v73 op_sel_hi:[0,1,0]
.LBB27_36:                              ;   in Loop: Header=BB27_6 Depth=1
	v_add_nc_u64_e32 v[76:77], v[38:39], v[10:11]
	v_mov_b32_e32 v78, v37
	global_load_b128 v[96:99], v[76:77], off
	s_wait_loadcnt 0x0
	;;#ASMSTART
	v_dot2_f32_f16 v78, v96, v79, v78
	;;#ASMEND
	;;#ASMSTART
	v_dot2_f32_f16 v78, v97, v80, v78
	;;#ASMEND
	;;#ASMSTART
	v_dot2_f32_f16 v78, v98, v81, v78
	;;#ASMEND
	;;#ASMSTART
	v_dot2_f32_f16 v78, v99, v82, v78
	;;#ASMEND
	global_load_b128 v[96:99], v[76:77], off offset:128
	s_wait_loadcnt 0x0
	;;#ASMSTART
	v_dot2_f32_f16 v78, v96, v83, v78
	;;#ASMEND
	;;#ASMSTART
	v_dot2_f32_f16 v78, v97, v84, v78
	;;#ASMEND
	;;#ASMSTART
	v_dot2_f32_f16 v78, v98, v85, v78
	;;#ASMEND
	;;#ASMSTART
	v_dot2_f32_f16 v78, v99, v86, v78
	;;#ASMEND
	global_load_b128 v[96:99], v[76:77], off offset:256
	;; [unrolled: 14-line block ×3, first 2 shown]
	s_wait_loadcnt 0x0
	;;#ASMSTART
	v_dot2_f32_f16 v78, v96, v91, v78
	;;#ASMEND
	;;#ASMSTART
	v_dot2_f32_f16 v78, v97, v92, v78
	;;#ASMEND
	;;#ASMSTART
	v_dot2_f32_f16 v78, v98, v93, v78
	;;#ASMEND
	;;#ASMSTART
	v_dot2_f32_f16 v78, v99, v94, v78
	;;#ASMEND
	ds_bpermute_b32 v76, v35, v78
	s_wait_dscnt 0x0
	v_add_f32_e32 v76, v78, v76
	ds_bpermute_b32 v77, v74, v76
	s_wait_dscnt 0x0
	v_add_f32_e32 v76, v76, v77
	;; [unrolled: 3-line block ×3, first 2 shown]
                                        ; implicit-def: $vgpr77
	s_delay_alu instid0(VALU_DEP_1) | instskip(SKIP_1) | instid1(SALU_CYCLE_1)
	v_cmp_ngt_f32_e64 s34, 0x3f200000, |v76|
	s_and_saveexec_b32 s37, s34
	s_xor_b32 s34, exec_lo, s37
	s_cbranch_execz .LBB27_38
; %bb.37:                               ;   in Loop: Header=BB27_6 Depth=1
	v_add_f32_e64 v77, |v76|, |v76|
	s_delay_alu instid0(VALU_DEP_1) | instskip(SKIP_1) | instid1(VALU_DEP_2)
	v_mul_f32_e32 v78, 0x3fb8aa3b, v77
	v_cmp_ngt_f32_e32 vcc_lo, 0xc2ce8ed0, v77
	v_rndne_f32_e32 v95, v78
	v_fma_f32 v96, 0x3fb8aa3b, v77, -v78
	s_delay_alu instid0(VALU_DEP_2) | instskip(NEXT) | instid1(VALU_DEP_2)
	v_sub_f32_e32 v78, v78, v95
	v_fmac_f32_e32 v96, 0x32a5705f, v77
	v_cvt_i32_f32_e32 v95, v95
	s_delay_alu instid0(VALU_DEP_2) | instskip(NEXT) | instid1(VALU_DEP_1)
	v_add_f32_e32 v78, v78, v96
	v_exp_f32_e32 v78, v78
	v_nop
	s_delay_alu instid0(TRANS32_DEP_1) | instskip(NEXT) | instid1(VALU_DEP_1)
	v_ldexp_f32 v78, v78, v95
	v_cndmask_b32_e32 v78, 0, v78, vcc_lo
	v_cmp_nlt_f32_e32 vcc_lo, 0x42b17218, v77
	s_delay_alu instid0(VALU_DEP_2) | instskip(NEXT) | instid1(VALU_DEP_1)
	v_cndmask_b32_e32 v77, 0x7f800000, v78, vcc_lo
	v_add_f32_e32 v77, 1.0, v77
	s_delay_alu instid0(VALU_DEP_1) | instskip(SKIP_1) | instid1(TRANS32_DEP_1)
	v_rcp_f32_e32 v77, v77
	v_nop
	v_fma_f32 v77, v77, -2.0, 1.0
.LBB27_38:                              ;   in Loop: Header=BB27_6 Depth=1
	s_and_not1_saveexec_b32 s34, s34
	s_cbranch_execz .LBB27_40
; %bb.39:                               ;   in Loop: Header=BB27_6 Depth=1
	v_mul_f32_e32 v77, v76, v76
	s_delay_alu instid0(VALU_DEP_1) | instskip(NEXT) | instid1(VALU_DEP_1)
	v_fmaak_f32 v78, s27, v77, 0x3ca908c9
	v_fmaak_f32 v78, v77, v78, 0xbd5c1c4e
	s_delay_alu instid0(VALU_DEP_1) | instskip(NEXT) | instid1(VALU_DEP_1)
	v_fmaak_f32 v78, v77, v78, 0x3e088382
	v_fmaak_f32 v78, v77, v78, 0xbeaaaa99
	s_delay_alu instid0(VALU_DEP_1) | instskip(NEXT) | instid1(VALU_DEP_1)
	v_mul_f32_e64 v78, |v76|, v78
	v_fma_f32 v77, v77, v78, |v76|
.LBB27_40:                              ;   in Loop: Header=BB27_6 Depth=1
	s_or_b32 exec_lo, exec_lo, s34
	s_delay_alu instid0(VALU_DEP_1) | instskip(SKIP_1) | instid1(VALU_DEP_1)
	v_bfi_b32 v76, 0x7fffffff, v77, v76
	s_and_not1_b32 vcc_lo, exec_lo, s23
	v_mul_f32_e32 v76, s31, v76
	s_cbranch_vccnz .LBB27_42
; %bb.41:                               ;   in Loop: Header=BB27_6 Depth=1
	global_load_u16 v77, v[40:41], off offset:10
	s_wait_loadcnt 0x0
	v_fma_mix_f32 v76, v49, v77, v76 op_sel_hi:[0,1,0]
.LBB27_42:                              ;   in Loop: Header=BB27_6 Depth=1
	v_add_nc_u64_e32 v[100:101], v[38:39], v[12:13]
	v_mov_b32_e32 v78, v37
	global_load_b128 v[96:99], v[100:101], off
	s_wait_loadcnt 0x0
	;;#ASMSTART
	v_dot2_f32_f16 v78, v96, v79, v78
	;;#ASMEND
	;;#ASMSTART
	v_dot2_f32_f16 v78, v97, v80, v78
	;;#ASMEND
	;;#ASMSTART
	v_dot2_f32_f16 v78, v98, v81, v78
	;;#ASMEND
	;;#ASMSTART
	v_dot2_f32_f16 v78, v99, v82, v78
	;;#ASMEND
	global_load_b128 v[96:99], v[100:101], off offset:128
	s_wait_loadcnt 0x0
	;;#ASMSTART
	v_dot2_f32_f16 v78, v96, v83, v78
	;;#ASMEND
	;;#ASMSTART
	v_dot2_f32_f16 v78, v97, v84, v78
	;;#ASMEND
	;;#ASMSTART
	v_dot2_f32_f16 v78, v98, v85, v78
	;;#ASMEND
	;;#ASMSTART
	v_dot2_f32_f16 v78, v99, v86, v78
	;;#ASMEND
	global_load_b128 v[96:99], v[100:101], off offset:256
	;; [unrolled: 14-line block ×3, first 2 shown]
	s_wait_loadcnt 0x0
	;;#ASMSTART
	v_dot2_f32_f16 v78, v96, v91, v78
	;;#ASMEND
	;;#ASMSTART
	v_dot2_f32_f16 v78, v97, v92, v78
	;;#ASMEND
	;; [unrolled: 3-line block ×4, first 2 shown]
	ds_bpermute_b32 v77, v35, v78
	s_wait_dscnt 0x0
	v_add_f32_e32 v77, v78, v77
	ds_bpermute_b32 v78, v74, v77
	s_wait_dscnt 0x0
	v_add_f32_e32 v77, v77, v78
	;; [unrolled: 3-line block ×3, first 2 shown]
                                        ; implicit-def: $vgpr78
	s_delay_alu instid0(VALU_DEP_1) | instskip(SKIP_1) | instid1(SALU_CYCLE_1)
	v_cmp_ngt_f32_e64 s34, 0x3f200000, |v77|
	s_and_saveexec_b32 s37, s34
	s_xor_b32 s34, exec_lo, s37
	s_cbranch_execz .LBB27_44
; %bb.43:                               ;   in Loop: Header=BB27_6 Depth=1
	v_add_f32_e64 v78, |v77|, |v77|
	s_delay_alu instid0(VALU_DEP_1) | instskip(SKIP_1) | instid1(VALU_DEP_2)
	v_mul_f32_e32 v95, 0x3fb8aa3b, v78
	v_cmp_ngt_f32_e32 vcc_lo, 0xc2ce8ed0, v78
	v_rndne_f32_e32 v96, v95
	v_fma_f32 v97, 0x3fb8aa3b, v78, -v95
	s_delay_alu instid0(VALU_DEP_2) | instskip(NEXT) | instid1(VALU_DEP_2)
	v_sub_f32_e32 v95, v95, v96
	v_fmac_f32_e32 v97, 0x32a5705f, v78
	v_cvt_i32_f32_e32 v96, v96
	s_delay_alu instid0(VALU_DEP_2) | instskip(NEXT) | instid1(VALU_DEP_1)
	v_add_f32_e32 v95, v95, v97
	v_exp_f32_e32 v95, v95
	v_nop
	s_delay_alu instid0(TRANS32_DEP_1) | instskip(NEXT) | instid1(VALU_DEP_1)
	v_ldexp_f32 v95, v95, v96
	v_cndmask_b32_e32 v95, 0, v95, vcc_lo
	v_cmp_nlt_f32_e32 vcc_lo, 0x42b17218, v78
	s_delay_alu instid0(VALU_DEP_2) | instskip(NEXT) | instid1(VALU_DEP_1)
	v_cndmask_b32_e32 v78, 0x7f800000, v95, vcc_lo
	v_add_f32_e32 v78, 1.0, v78
	s_delay_alu instid0(VALU_DEP_1) | instskip(SKIP_1) | instid1(TRANS32_DEP_1)
	v_rcp_f32_e32 v78, v78
	v_nop
	v_fma_f32 v78, v78, -2.0, 1.0
.LBB27_44:                              ;   in Loop: Header=BB27_6 Depth=1
	s_and_not1_saveexec_b32 s34, s34
	s_cbranch_execz .LBB27_46
; %bb.45:                               ;   in Loop: Header=BB27_6 Depth=1
	v_mul_f32_e32 v78, v77, v77
	s_delay_alu instid0(VALU_DEP_1) | instskip(NEXT) | instid1(VALU_DEP_1)
	v_fmaak_f32 v95, s27, v78, 0x3ca908c9
	v_fmaak_f32 v95, v78, v95, 0xbd5c1c4e
	s_delay_alu instid0(VALU_DEP_1) | instskip(NEXT) | instid1(VALU_DEP_1)
	v_fmaak_f32 v95, v78, v95, 0x3e088382
	v_fmaak_f32 v95, v78, v95, 0xbeaaaa99
	s_delay_alu instid0(VALU_DEP_1) | instskip(NEXT) | instid1(VALU_DEP_1)
	v_mul_f32_e64 v95, |v77|, v95
	v_fma_f32 v78, v78, v95, |v77|
.LBB27_46:                              ;   in Loop: Header=BB27_6 Depth=1
	s_or_b32 exec_lo, exec_lo, s34
	s_delay_alu instid0(VALU_DEP_1) | instskip(SKIP_1) | instid1(VALU_DEP_1)
	v_bfi_b32 v77, 0x7fffffff, v78, v77
	s_and_not1_b32 vcc_lo, exec_lo, s23
	v_mul_f32_e32 v77, s31, v77
	s_cbranch_vccnz .LBB27_48
; %bb.47:                               ;   in Loop: Header=BB27_6 Depth=1
	global_load_u16 v78, v[40:41], off offset:12
	s_wait_loadcnt 0x0
	v_fma_mix_f32 v77, v49, v78, v77 op_sel_hi:[0,1,0]
.LBB27_48:                              ;   in Loop: Header=BB27_6 Depth=1
	v_add_nc_u64_e32 v[38:39], v[38:39], v[14:15]
	v_mov_b32_e32 v78, v37
	global_load_b128 v[96:99], v[38:39], off
	s_wait_loadcnt 0x0
	;;#ASMSTART
	v_dot2_f32_f16 v78, v96, v79, v78
	;;#ASMEND
	;;#ASMSTART
	v_dot2_f32_f16 v78, v97, v80, v78
	;;#ASMEND
	;;#ASMSTART
	v_dot2_f32_f16 v78, v98, v81, v78
	;;#ASMEND
	;;#ASMSTART
	v_dot2_f32_f16 v78, v99, v82, v78
	;;#ASMEND
	global_load_b128 v[96:99], v[38:39], off offset:128
	s_wait_loadcnt 0x0
	;;#ASMSTART
	v_dot2_f32_f16 v78, v96, v83, v78
	;;#ASMEND
	;;#ASMSTART
	v_dot2_f32_f16 v78, v97, v84, v78
	;;#ASMEND
	;;#ASMSTART
	v_dot2_f32_f16 v78, v98, v85, v78
	;;#ASMEND
	;;#ASMSTART
	v_dot2_f32_f16 v78, v99, v86, v78
	;;#ASMEND
	global_load_b128 v[96:99], v[38:39], off offset:256
	;; [unrolled: 14-line block ×3, first 2 shown]
	s_wait_loadcnt 0x0
	;;#ASMSTART
	v_dot2_f32_f16 v78, v96, v91, v78
	;;#ASMEND
	;;#ASMSTART
	v_dot2_f32_f16 v78, v97, v92, v78
	;;#ASMEND
	;; [unrolled: 3-line block ×4, first 2 shown]
	ds_bpermute_b32 v35, v35, v78
	s_wait_dscnt 0x0
	v_add_f32_e32 v35, v78, v35
	ds_bpermute_b32 v38, v74, v35
	s_wait_dscnt 0x0
	v_add_f32_e32 v35, v35, v38
	;; [unrolled: 3-line block ×3, first 2 shown]
                                        ; implicit-def: $vgpr38
	s_delay_alu instid0(VALU_DEP_1) | instskip(SKIP_1) | instid1(SALU_CYCLE_1)
	v_cmp_ngt_f32_e64 s34, 0x3f200000, |v35|
	s_and_saveexec_b32 s37, s34
	s_xor_b32 s34, exec_lo, s37
	s_cbranch_execz .LBB27_50
; %bb.49:                               ;   in Loop: Header=BB27_6 Depth=1
	v_add_f32_e64 v38, |v35|, |v35|
	s_delay_alu instid0(VALU_DEP_1) | instskip(SKIP_1) | instid1(VALU_DEP_2)
	v_mul_f32_e32 v39, 0x3fb8aa3b, v38
	v_cmp_ngt_f32_e32 vcc_lo, 0xc2ce8ed0, v38
	v_rndne_f32_e32 v74, v39
	v_fma_f32 v75, 0x3fb8aa3b, v38, -v39
	s_delay_alu instid0(VALU_DEP_2) | instskip(NEXT) | instid1(VALU_DEP_2)
	v_sub_f32_e32 v39, v39, v74
	v_fmac_f32_e32 v75, 0x32a5705f, v38
	v_cvt_i32_f32_e32 v74, v74
	s_delay_alu instid0(VALU_DEP_2) | instskip(NEXT) | instid1(VALU_DEP_1)
	v_add_f32_e32 v39, v39, v75
	v_exp_f32_e32 v39, v39
	v_nop
	s_delay_alu instid0(TRANS32_DEP_1) | instskip(NEXT) | instid1(VALU_DEP_1)
	v_ldexp_f32 v39, v39, v74
	v_cndmask_b32_e32 v39, 0, v39, vcc_lo
	v_cmp_nlt_f32_e32 vcc_lo, 0x42b17218, v38
	s_delay_alu instid0(VALU_DEP_2) | instskip(NEXT) | instid1(VALU_DEP_1)
	v_cndmask_b32_e32 v38, 0x7f800000, v39, vcc_lo
	v_add_f32_e32 v38, 1.0, v38
	s_delay_alu instid0(VALU_DEP_1) | instskip(SKIP_1) | instid1(TRANS32_DEP_1)
	v_rcp_f32_e32 v38, v38
	v_nop
	v_fma_f32 v38, v38, -2.0, 1.0
.LBB27_50:                              ;   in Loop: Header=BB27_6 Depth=1
	s_and_not1_saveexec_b32 s34, s34
	s_cbranch_execz .LBB27_52
; %bb.51:                               ;   in Loop: Header=BB27_6 Depth=1
	v_mul_f32_e32 v38, v35, v35
	s_delay_alu instid0(VALU_DEP_1) | instskip(NEXT) | instid1(VALU_DEP_1)
	v_fmaak_f32 v39, s27, v38, 0x3ca908c9
	v_fmaak_f32 v39, v38, v39, 0xbd5c1c4e
	s_delay_alu instid0(VALU_DEP_1) | instskip(NEXT) | instid1(VALU_DEP_1)
	v_fmaak_f32 v39, v38, v39, 0x3e088382
	v_fmaak_f32 v39, v38, v39, 0xbeaaaa99
	s_delay_alu instid0(VALU_DEP_1) | instskip(NEXT) | instid1(VALU_DEP_1)
	v_mul_f32_e64 v39, |v35|, v39
	v_fma_f32 v38, v38, v39, |v35|
.LBB27_52:                              ;   in Loop: Header=BB27_6 Depth=1
	s_or_b32 exec_lo, exec_lo, s34
	s_delay_alu instid0(VALU_DEP_1) | instskip(SKIP_1) | instid1(VALU_DEP_1)
	v_bfi_b32 v35, 0x7fffffff, v38, v35
	s_and_not1_b32 vcc_lo, exec_lo, s23
	v_mul_f32_e32 v38, s31, v35
	s_cbranch_vccnz .LBB27_54
; %bb.53:                               ;   in Loop: Header=BB27_6 Depth=1
	global_load_u16 v35, v[40:41], off offset:14
	s_wait_loadcnt 0x0
	v_fma_mix_f32 v38, v49, v35, v38 op_sel_hi:[0,1,0]
.LBB27_54:                              ;   in Loop: Header=BB27_6 Depth=1
	v_add_nc_u64_e32 v[40:41], s[38:39], v[16:17]
	v_add_nc_u64_e32 v[74:75], s[38:39], v[18:19]
	v_mov_b32_e32 v35, v37
	v_add_f32_e32 v39, 0x40051340, v36
	s_mov_b32 s41, s35
	s_delay_alu instid0(VALU_DEP_2) | instskip(NEXT) | instid1(VALU_DEP_4)
	v_add_nc_u64_e32 v[40:41], v[40:41], v[34:35]
	v_add_nc_u64_e32 v[74:75], v[74:75], v[34:35]
	s_clause 0x4
	global_load_b128 v[96:99], v[40:41], off
	global_load_b128 v[100:103], v[40:41], off offset:128
	global_load_b128 v[104:107], v[40:41], off offset:256
	;; [unrolled: 1-line block ×3, first 2 shown]
	global_load_b128 v[112:115], v[74:75], off
	s_wait_xcnt 0x1
	v_add_nc_u64_e32 v[40:41], s[38:39], v[20:21]
	s_clause 0x1
	global_load_b128 v[116:119], v[74:75], off offset:128
	global_load_b128 v[120:123], v[74:75], off offset:256
	v_add_nc_u64_e32 v[40:41], v[40:41], v[34:35]
	s_clause 0x1
	global_load_b128 v[124:127], v[74:75], off offset:384
	global_load_b128 v[128:131], v[40:41], off
	s_wait_xcnt 0x1
	v_add_nc_u64_e32 v[74:75], s[38:39], v[22:23]
	s_clause 0x1
	global_load_b128 v[132:135], v[40:41], off offset:128
	global_load_b128 v[136:139], v[40:41], off offset:256
	v_add_nc_u64_e32 v[74:75], v[74:75], v[34:35]
	s_clause 0x1
	global_load_b128 v[140:143], v[40:41], off offset:384
	;; [unrolled: 9-line block ×6, first 2 shown]
	global_load_b128 v[208:211], v[74:75], off
	global_load_b128 v[212:215], v[74:75], off offset:128
	global_load_b128 v[216:219], v[74:75], off offset:256
	global_load_b128 v[220:223], v[74:75], off offset:384
	s_wait_xcnt 0x4
	v_dual_add_f32 v35, 0x40051340, v33 :: v_dual_add_f32 v40, 0x40051340, v71
	s_wait_xcnt 0x0
	v_dual_add_f32 v41, 0x40051340, v72 :: v_dual_add_f32 v74, 0x40051340, v73
	v_add_f32_e32 v75, 0x40051340, v76
	s_delay_alu instid0(VALU_DEP_3) | instskip(SKIP_2) | instid1(VALU_DEP_2)
	v_max3_num_f32 v35, v70, v35, v39
	v_dual_cndmask_b32 v33, v69, v33, s3 :: v_dual_bitop2_b32 v39, 8, v48 bitop3:0x14
	s_load_b32 s34, s[14:15], 0x4
	v_max3_num_f32 v35, v35, v40, v41
	s_delay_alu instid0(VALU_DEP_2) | instskip(SKIP_2) | instid1(VALU_DEP_4)
	v_cmp_gt_i32_e32 vcc_lo, 32, v39
	v_dual_add_f32 v40, 0x40051340, v77 :: v_dual_add_f32 v41, 0x40051340, v38
	v_cndmask_b32_e64 v33, v33, v36, s4
	v_max3_num_f32 v35, v35, v74, v75
	v_cndmask_b32_e32 v39, v48, v39, vcc_lo
	s_delay_alu instid0(VALU_DEP_3) | instskip(NEXT) | instid1(VALU_DEP_3)
	v_cndmask_b32_e64 v33, v33, v71, s5
	v_max3_num_f32 v35, v35, v40, v41
	s_delay_alu instid0(VALU_DEP_3) | instskip(NEXT) | instid1(VALU_DEP_3)
	v_dual_lshlrev_b32 v39, 2, v39 :: v_dual_bitop2_b32 v40, 16, v48 bitop3:0x14
	v_cndmask_b32_e64 v33, v33, v72, s6
	s_delay_alu instid0(VALU_DEP_2)
	v_cmp_gt_i32_e32 vcc_lo, 32, v40
	ds_bpermute_b32 v39, v39, v35
	s_wait_kmcnt 0x0
	s_lshl_b32 s40, s34, 7
	v_cndmask_b32_e64 v33, v33, v73, s7
	s_mul_i32 s34, s40, s36
	v_cndmask_b32_e32 v40, v48, v40, vcc_lo
	s_add_co_i32 s42, s40, s42
	s_add_nc_u64 s[10:11], s[10:11], s[34:35]
	s_mul_i32 s34, s40, s22
	s_lshl_b64 s[40:41], s[40:41], 1
	v_lshlrev_b32_e32 v40, 2, v40
	s_add_nc_u64 s[38:39], s[38:39], s[34:35]
	s_cmp_ge_i32 s42, s28
	s_add_nc_u64 s[20:21], s[20:21], s[40:41]
	s_wait_dscnt 0x0
	v_dual_cndmask_b32 v33, v33, v76, s8 :: v_dual_max_num_f32 v39, v39, v39
	s_delay_alu instid0(VALU_DEP_1) | instskip(SKIP_3) | instid1(VALU_DEP_1)
	v_max_num_f32_e32 v35, v35, v39
	ds_bpermute_b32 v36, v40, v35
	s_wait_dscnt 0x0
	v_dual_max_num_f32 v36, v36, v36 :: v_dual_cndmask_b32 v39, v33, v77, s9
	v_max_num_f32_e32 v33, v35, v36
	s_delay_alu instid0(VALU_DEP_1) | instskip(NEXT) | instid1(VALU_DEP_1)
	v_dual_cndmask_b32 v35, v39, v38, s2 :: v_dual_sub_f32 v36, v70, v33
	v_dual_sub_f32 v35, v35, v33 :: v_dual_mul_f32 v38, 0x3fb8aa3b, v36
	v_cmp_ngt_f32_e32 vcc_lo, 0xc2ce8ed0, v36
	s_delay_alu instid0(VALU_DEP_2) | instskip(SKIP_1) | instid1(VALU_DEP_1)
	v_fma_f32 v40, 0x3fb8aa3b, v36, -v38
	v_rndne_f32_e32 v41, v38
	v_dual_mul_f32 v39, 0x3fb8aa3b, v35 :: v_dual_sub_f32 v38, v38, v41
	s_delay_alu instid0(VALU_DEP_1) | instskip(SKIP_1) | instid1(VALU_DEP_2)
	v_fma_f32 v69, 0x3fb8aa3b, v35, -v39
	v_rndne_f32_e32 v70, v39
	v_dual_fmac_f32 v40, 0x32a5705f, v36 :: v_dual_fmac_f32 v69, 0x32a5705f, v35
	s_delay_alu instid0(VALU_DEP_1) | instskip(SKIP_2) | instid1(VALU_DEP_3)
	v_dual_sub_f32 v39, v39, v70 :: v_dual_add_f32 v38, v38, v40
	v_cvt_i32_f32_e32 v40, v41
	v_cvt_i32_f32_e32 v41, v70
	v_exp_f32_e32 v38, v38
	v_nop
	s_delay_alu instid0(TRANS32_DEP_1) | instskip(NEXT) | instid1(VALU_DEP_1)
	v_ldexp_f32 v38, v38, v40
	v_dual_add_f32 v39, v39, v69 :: v_dual_cndmask_b32 v38, 0, v38
	s_delay_alu instid0(VALU_DEP_1) | instskip(SKIP_1) | instid1(TRANS32_DEP_1)
	v_exp_f32_e32 v39, v39
	v_cmp_ngt_f32_e32 vcc_lo, 0xc2ce8ed0, v35
	v_ldexp_f32 v39, v39, v41
	s_delay_alu instid0(VALU_DEP_1) | instskip(SKIP_3) | instid1(VALU_DEP_2)
	v_cndmask_b32_e32 v39, 0, v39, vcc_lo
	v_cmp_nlt_f32_e32 vcc_lo, 0x42b17218, v36
	v_cndmask_b32_e32 v36, 0x7f800000, v38, vcc_lo
	v_cmp_nlt_f32_e32 vcc_lo, 0x42b17218, v35
	v_cvt_f16_f32_e32 v35, v36
	v_cndmask_b32_e32 v69, 0x7f800000, v39, vcc_lo
	s_delay_alu instid0(VALU_DEP_2) | instskip(NEXT) | instid1(VALU_DEP_2)
	v_and_b32_e32 v35, 0xffff, v35
	v_cvt_f16_f32_e32 v38, v69
	v_fma_f32 v50, v50, v36, v69
	s_delay_alu instid0(VALU_DEP_3)
	v_mul_u32_u24_e32 v35, 0x10001, v35
	ds_store_b16 v43, v38
	ds_load_u16 v36, v67
	ds_load_u16 v38, v68 offset:8
	ds_load_u16 v39, v68 offset:16
	;; [unrolled: 1-line block ×7, first 2 shown]
	v_pk_mul_f16 v52, v52, v35
	v_pk_mul_f16 v66, v66, v35
	;; [unrolled: 1-line block ×16, first 2 shown]
	s_wait_dscnt 0x7
	v_mul_u32_u24_e32 v36, 0x10001, v36
	s_wait_dscnt 0x6
	v_mul_u32_u24_e32 v38, 0x10001, v38
	;; [unrolled: 2-line block ×5, first 2 shown]
	v_mul_u32_u24_e32 v41, 0x10001, v41
	v_mul_u32_u24_e32 v70, 0x10001, v70
	;; [unrolled: 1-line block ×3, first 2 shown]
	s_wait_loadcnt 0x1e
	v_pk_fma_f16 v63, v100, v36, v63
	v_pk_fma_f16 v52, v96, v36, v52
	;; [unrolled: 1-line block ×8, first 2 shown]
	s_wait_loadcnt 0x1d
	v_pk_fma_f16 v59, v104, v36, v59
	v_pk_fma_f16 v58, v105, v36, v58
	v_pk_fma_f16 v57, v106, v36, v57
	v_pk_fma_f16 v56, v107, v36, v56
	s_wait_loadcnt 0x1c
	v_pk_fma_f16 v55, v108, v36, v55
	v_pk_fma_f16 v54, v109, v36, v54
	v_pk_fma_f16 v53, v110, v36, v53
	v_pk_fma_f16 v35, v111, v36, v35
	;; [unrolled: 5-line block ×30, first 2 shown]
	s_cbranch_scc1 .LBB27_57
; %bb.55:                               ;   in Loop: Header=BB27_6 Depth=1
	v_mov_b32_e32 v70, v33
	s_branch .LBB27_6
.LBB27_56:
	s_wait_loadcnt 0x6
	v_dual_mov_b32 v52, 0 :: v_dual_mov_b32 v33, 0xfeffffff
	v_dual_mov_b32 v64, 0 :: v_dual_mov_b32 v66, 0
	;; [unrolled: 1-line block ×8, first 2 shown]
	v_mov_b32_e32 v51, 0
.LBB27_57:
	v_or_b32_e32 v0, s33, v47
	s_cmp_lg_u64 s[12:13], 0
	s_cselect_b32 s2, -1, 0
	s_delay_alu instid0(VALU_DEP_1) | instskip(SKIP_1) | instid1(SALU_CYCLE_1)
	v_cmp_eq_u32_e32 vcc_lo, 0, v0
	s_and_b32 s3, vcc_lo, s2
	s_and_saveexec_b32 s2, s3
	s_cbranch_execz .LBB27_59
; %bb.58:
	v_dual_mov_b32 v0, s29 :: v_dual_max_num_f32 v1, v33, v33
	global_load_b32 v0, v0, s[12:13] scale_offset
	s_wait_loadcnt 0x0
	v_max_num_f32_e32 v2, v0, v0
	s_delay_alu instid0(VALU_DEP_1) | instskip(NEXT) | instid1(VALU_DEP_1)
	v_max_num_f32_e32 v1, v1, v2
	v_sub_f32_e32 v0, v0, v1
	s_delay_alu instid0(VALU_DEP_1) | instskip(SKIP_2) | instid1(VALU_DEP_3)
	v_mul_f32_e32 v4, 0x3fb8aa3b, v0
	v_sub_f32_e32 v2, v33, v1
	v_mov_b32_e32 v33, v1
	v_rndne_f32_e32 v8, v4
	s_delay_alu instid0(VALU_DEP_3) | instskip(SKIP_1) | instid1(VALU_DEP_3)
	v_mul_f32_e32 v3, 0x3fb8aa3b, v2
	v_fma_f32 v7, 0x3fb8aa3b, v0, -v4
	v_sub_f32_e32 v4, v4, v8
	s_delay_alu instid0(VALU_DEP_3) | instskip(SKIP_1) | instid1(VALU_DEP_4)
	v_fma_f32 v5, 0x3fb8aa3b, v2, -v3
	v_rndne_f32_e32 v6, v3
	v_fmac_f32_e32 v7, 0x32a5705f, v0
	s_delay_alu instid0(VALU_DEP_2) | instskip(NEXT) | instid1(VALU_DEP_2)
	v_sub_f32_e32 v3, v3, v6
	v_dual_fmac_f32 v5, 0x32a5705f, v2 :: v_dual_add_f32 v4, v4, v7
	v_cmp_ngt_f32_e32 vcc_lo, 0xc2ce8ed0, v2
	s_delay_alu instid0(VALU_DEP_2) | instskip(SKIP_1) | instid1(VALU_DEP_4)
	v_add_f32_e32 v3, v3, v5
	v_cvt_i32_f32_e32 v5, v6
	v_exp_f32_e32 v4, v4
	v_cvt_i32_f32_e32 v6, v8
	s_delay_alu instid0(VALU_DEP_3)
	v_exp_f32_e32 v3, v3
	s_delay_alu instid0(TRANS32_DEP_2) | instid1(VALU_DEP_1)
	v_ldexp_f32 v4, v4, v6
	s_delay_alu instid0(TRANS32_DEP_1) | instskip(NEXT) | instid1(VALU_DEP_1)
	v_ldexp_f32 v3, v3, v5
	v_cndmask_b32_e32 v3, 0, v3, vcc_lo
	v_cmp_ngt_f32_e32 vcc_lo, 0xc2ce8ed0, v0
	s_delay_alu instid0(VALU_DEP_4) | instskip(SKIP_1) | instid1(VALU_DEP_4)
	v_cndmask_b32_e32 v4, 0, v4, vcc_lo
	v_cmp_nlt_f32_e32 vcc_lo, 0x42b17218, v2
	v_cndmask_b32_e32 v2, 0x7f800000, v3, vcc_lo
	v_cmp_nlt_f32_e32 vcc_lo, 0x42b17218, v0
	s_delay_alu instid0(VALU_DEP_2) | instskip(SKIP_2) | instid1(VALU_DEP_3)
	v_cvt_f16_f32_e32 v3, v2
	v_cndmask_b32_e32 v0, 0x7f800000, v4, vcc_lo
	v_cmp_eq_u32_e32 vcc_lo, 0, v46
	v_and_b32_e32 v3, 0xffff, v3
	s_delay_alu instid0(VALU_DEP_3) | instskip(NEXT) | instid1(VALU_DEP_1)
	v_cndmask_b32_e32 v0, 0, v0, vcc_lo
	v_fmac_f32_e32 v0, v50, v2
	s_delay_alu instid0(VALU_DEP_3) | instskip(NEXT) | instid1(VALU_DEP_2)
	v_mul_u32_u24_e32 v2, 0x10001, v3
	v_mov_b32_e32 v50, v0
	s_delay_alu instid0(VALU_DEP_2)
	v_pk_mul_f16 v52, v52, v2
	v_pk_mul_f16 v66, v66, v2
	;; [unrolled: 1-line block ×16, first 2 shown]
.LBB27_59:
	s_or_b32 exec_lo, exec_lo, s2
	s_delay_alu instid0(SALU_CYCLE_1)
	s_mov_b32 s2, exec_lo
	v_cmpx_eq_u32_e32 0, v47
	s_cbranch_execz .LBB27_61
; %bb.60:
	v_dual_mov_b32 v0, 0xfeffffff :: v_dual_mov_b32 v1, 0
	s_wait_loadcnt 0x1
	v_add_nc_u32_e32 v2, 0x2000, v44
	ds_store_2addr_b32 v2, v0, v1 offset1:32
.LBB27_61:
	s_or_b32 exec_lo, exec_lo, s2
	v_cmp_eq_u32_e32 vcc_lo, 0, v46
	s_wait_loadcnt 0x3
	v_lshlrev_b32_e32 v6, 2, v47
	s_wait_loadcnt_dscnt 0x0
	s_barrier_signal -1
	s_barrier_wait -1
	s_and_saveexec_b32 s2, vcc_lo
; %bb.62:
	ds_store_b32 v6, v33 offset:8192
; %bb.63:
	s_or_b32 exec_lo, exec_lo, s2
	v_xor_b32_e32 v2, 8, v48
	v_xor_b32_e32 v1, 16, v48
	s_wait_dscnt 0x0
	s_barrier_signal -1
	s_barrier_wait -1
	ds_load_b32 v0, v44 offset:8192
	v_cmp_gt_i32_e64 s2, 32, v1
	s_load_b32 s1, s[0:1], 0xd4
	v_dual_lshlrev_b32 v13, 6, v46 :: v_dual_bitop2_b32 v7, 1, v48 bitop3:0x14
	v_cndmask_b32_e64 v1, v48, v1, s2
	v_cmp_gt_i32_e64 s2, 32, v2
	s_delay_alu instid0(VALU_DEP_3) | instskip(NEXT) | instid1(VALU_DEP_2)
	v_and_b32_e32 v13, 0x1e00, v13
	v_cndmask_b32_e64 v2, v48, v2, s2
	s_delay_alu instid0(VALU_DEP_2) | instskip(NEXT) | instid1(VALU_DEP_2)
	v_lshl_add_u32 v13, v47, 11, v13
	v_dual_lshlrev_b32 v5, 2, v2 :: v_dual_lshlrev_b32 v4, 2, v1
	v_xor_b32_e32 v2, 4, v48
	s_delay_alu instid0(VALU_DEP_3)
	v_lshl_or_b32 v13, v45, 2, v13
	s_wait_dscnt 0x0
	ds_bpermute_b32 v1, v4, v0
	v_max_num_f32_e32 v0, v0, v0
	v_cmp_gt_i32_e64 s2, 32, v2
	s_wait_dscnt 0x0
	v_max_num_f32_e32 v1, v1, v1
	s_delay_alu instid0(VALU_DEP_1) | instskip(SKIP_3) | instid1(VALU_DEP_1)
	v_max_num_f32_e32 v0, v0, v1
	ds_bpermute_b32 v1, v5, v0
	s_wait_dscnt 0x0
	v_dual_cndmask_b32 v2, v48, v2, s2 :: v_dual_max_num_f32 v1, v1, v1
	v_dual_max_num_f32 v0, v0, v1 :: v_dual_lshlrev_b32 v3, 2, v2
	ds_bpermute_b32 v1, v3, v0
	s_wait_dscnt 0x0
	v_dual_max_num_f32 v1, v1, v1 :: v_dual_bitop2_b32 v2, 2, v48 bitop3:0x14
	s_delay_alu instid0(VALU_DEP_1) | instskip(NEXT) | instid1(VALU_DEP_2)
	v_cmp_gt_i32_e64 s2, 32, v2
	v_max_num_f32_e32 v0, v0, v1
	s_delay_alu instid0(VALU_DEP_2) | instskip(SKIP_1) | instid1(VALU_DEP_2)
	v_cndmask_b32_e64 v2, v48, v2, s2
	v_cmp_gt_i32_e64 s2, 32, v7
	v_lshlrev_b32_e32 v2, 2, v2
	ds_bpermute_b32 v1, v2, v0
	s_wait_dscnt 0x0
	v_dual_cndmask_b32 v7, v48, v7, s2 :: v_dual_max_num_f32 v8, v1, v1
	s_delay_alu instid0(VALU_DEP_1) | instskip(SKIP_3) | instid1(VALU_DEP_1)
	v_dual_max_num_f32 v0, v0, v8 :: v_dual_lshlrev_b32 v1, 2, v7
	ds_bpermute_b32 v7, v1, v0
	s_wait_dscnt 0x0
	v_max_num_f32_e32 v7, v7, v7
	v_max_num_f32_e32 v0, v0, v7
	s_delay_alu instid0(VALU_DEP_1) | instskip(NEXT) | instid1(VALU_DEP_1)
	v_sub_f32_e32 v7, v33, v0
	v_mul_f32_e32 v8, 0x3fb8aa3b, v7
	s_delay_alu instid0(VALU_DEP_1) | instskip(SKIP_1) | instid1(VALU_DEP_1)
	v_fma_f32 v9, 0x3fb8aa3b, v7, -v8
	v_rndne_f32_e32 v10, v8
	v_dual_fmamk_f32 v9, v7, 0x32a5705f, v9 :: v_dual_sub_f32 v8, v8, v10
	s_delay_alu instid0(VALU_DEP_1) | instskip(SKIP_2) | instid1(VALU_DEP_3)
	v_add_f32_e32 v8, v8, v9
	v_cvt_i32_f32_e32 v9, v10
	v_cmp_ngt_f32_e64 s2, 0xc2ce8ed0, v7
	v_exp_f32_e32 v8, v8
	v_nop
	s_delay_alu instid0(TRANS32_DEP_1) | instskip(NEXT) | instid1(VALU_DEP_1)
	v_ldexp_f32 v8, v8, v9
	v_cndmask_b32_e64 v8, 0, v8, s2
	v_cmp_nlt_f32_e64 s2, 0x42b17218, v7
	s_delay_alu instid0(VALU_DEP_1) | instskip(NEXT) | instid1(VALU_DEP_1)
	v_cndmask_b32_e64 v7, 0x7f800000, v8, s2
	v_mul_f32_e32 v8, v50, v7
	ds_bpermute_b32 v8, v4, v8
	s_wait_dscnt 0x0
	v_fmac_f32_e32 v8, v50, v7
	v_cvt_f16_f32_e32 v7, v7
	ds_bpermute_b32 v9, v5, v8
	v_and_b32_e32 v7, 0xffff, v7
	s_delay_alu instid0(VALU_DEP_1) | instskip(NEXT) | instid1(VALU_DEP_1)
	v_mul_u32_u24_e32 v10, 0x10001, v7
	v_pk_mul_f16 v11, v52, v10
	v_pk_mul_f16 v15, v65, v10
	v_pk_mul_f16 v18, v60, v10
	v_pk_mul_f16 v19, v59, v10
	v_pk_mul_f16 v22, v56, v10
	v_pk_mul_f16 v12, v66, v10
	v_pk_mul_f16 v14, v64, v10
	v_pk_mul_f16 v16, v62, v10
	v_pk_mul_f16 v17, v61, v10
	s_wait_dscnt 0x0
	v_add_f32_e32 v8, v8, v9
	v_pk_mul_f16 v20, v58, v10
	v_pk_mul_f16 v21, v57, v10
	;; [unrolled: 1-line block ×4, first 2 shown]
	ds_bpermute_b32 v9, v3, v8
	v_pk_mul_f16 v25, v53, v10
	s_wait_dscnt 0x0
	v_add_f32_e32 v8, v8, v9
	ds_bpermute_b32 v9, v2, v8
	s_wait_dscnt 0x0
	v_add_f32_e32 v7, v8, v9
	v_pk_mul_f16 v9, v63, v10
	v_pk_mul_f16 v10, v51, v10
	ds_store_2addr_b32 v13, v11, v15 offset1:3
	ds_store_2addr_b32 v13, v9, v18 offset0:32 offset1:35
	ds_store_2addr_b32 v13, v19, v22 offset0:64 offset1:67
	ds_store_2addr_b32 v13, v12, v14 offset0:1 offset1:2
	ds_store_2addr_b32 v13, v16, v17 offset0:33 offset1:34
	ds_store_2addr_b32 v13, v20, v21 offset0:65 offset1:66
	ds_store_2addr_b32 v13, v24, v25 offset0:97 offset1:98
	ds_store_2addr_b32 v13, v23, v10 offset0:96 offset1:99
	ds_bpermute_b32 v8, v1, v7
	s_wait_xcnt 0x0
	s_and_saveexec_b32 s0, vcc_lo
	s_cbranch_execz .LBB27_65
; %bb.64:
	s_wait_dscnt 0x0
	v_add_f32_e32 v7, v7, v8
	ds_store_b32 v6, v7 offset:8320
.LBB27_65:
	s_or_b32 exec_lo, exec_lo, s0
	s_wait_dscnt 0x0
	s_barrier_signal -1
	s_barrier_wait -1
	ds_load_b32 v6, v44 offset:8320
	ds_load_u16 v7, v43
	ds_load_u16 v8, v43 offset:1280
	ds_load_u16 v9, v43 offset:768
	;; [unrolled: 1-line block ×5, first 2 shown]
	s_mul_i32 s2, s26, s24
	s_delay_alu instid0(SALU_CYCLE_1) | instskip(NEXT) | instid1(SALU_CYCLE_1)
	s_add_co_i32 s2, s2, s30
	s_mul_i32 s2, s2, s25
	s_delay_alu instid0(SALU_CYCLE_1)
	s_add_co_i32 s2, s2, s29
	s_wait_dscnt 0x6
	ds_bpermute_b32 v4, v4, v6
	s_wait_dscnt 0x6
	v_cvt_f32_f16_e32 v7, v7
	s_wait_dscnt 0x5
	v_cvt_f32_f16_e32 v8, v8
	;; [unrolled: 2-line block ×4, first 2 shown]
	v_cvt_f32_f16_e32 v10, v10
	s_wait_dscnt 0x1
	v_cvt_f32_f16_e32 v12, v12
	s_delay_alu instid0(VALU_DEP_2) | instskip(NEXT) | instid1(VALU_DEP_1)
	v_dual_add_f32 v7, 0, v7 :: v_dual_add_f32 v10, 0, v10
	v_dual_add_f32 v7, v7, v11 :: v_dual_add_f32 v9, v10, v9
	s_delay_alu instid0(VALU_DEP_1)
	v_add_f32_e32 v7, v7, v12
	s_wait_dscnt 0x0
	v_add_f32_e32 v4, v6, v4
	ds_load_u16 v6, v43 offset:1536
	ds_load_u16 v13, v43 offset:2048
	;; [unrolled: 1-line block ×9, first 2 shown]
	v_add_f32_e32 v8, v9, v8
	ds_bpermute_b32 v5, v5, v4
	s_wait_dscnt 0x7
	v_cvt_f32_f16_e32 v14, v14
	s_wait_dscnt 0x6
	v_cvt_f32_f16_e32 v15, v15
	v_cvt_f32_f16_e32 v6, v6
	s_wait_dscnt 0x4
	v_cvt_f32_f16_e32 v10, v17
	;; [unrolled: 3-line block ×3, first 2 shown]
	s_wait_dscnt 0x0
	v_add_f32_e32 v4, v4, v5
	v_cvt_f32_f16_e32 v5, v13
	v_add_f32_e32 v8, v8, v10
	v_add_f32_e32 v6, v7, v6
	ds_load_u16 v7, v43 offset:4096
	ds_load_u16 v9, v43 offset:4608
	;; [unrolled: 1-line block ×8, first 2 shown]
	ds_bpermute_b32 v3, v3, v4
	v_cvt_f32_f16_e32 v18, v18
	v_dual_add_f32 v8, v8, v16 :: v_dual_add_f32 v5, v6, v5
	ds_load_u16 v6, v43 offset:7424
	ds_load_u16 v10, v43 offset:6912
	;; [unrolled: 1-line block ×4, first 2 shown]
	s_wait_dscnt 0xc
	v_cvt_f32_f16_e32 v7, v7
	s_wait_dscnt 0xb
	v_cvt_f32_f16_e32 v9, v9
	;; [unrolled: 2-line block ×5, first 2 shown]
	s_wait_dscnt 0x4
	v_add_f32_e32 v3, v4, v3
	v_add_f32_e32 v4, v8, v15
	;; [unrolled: 1-line block ×3, first 2 shown]
	v_cvt_f32_f16_e32 v11, v19
	v_cvt_f32_f16_e32 v8, v21
	s_delay_alu instid0(VALU_DEP_4) | instskip(NEXT) | instid1(VALU_DEP_4)
	v_add_f32_e32 v4, v4, v14
	v_add_f32_e32 v5, v5, v18
	ds_bpermute_b32 v2, v2, v3
	v_cvt_f32_f16_e32 v14, v20
	v_dual_add_f32 v4, v4, v8 :: v_dual_add_f32 v5, v5, v11
	ds_load_u16 v11, v43 offset:6144
	v_dual_add_f32 v4, v4, v14 :: v_dual_add_f32 v5, v5, v7
	ds_load_u16 v7, v43 offset:6656
	ds_load_u16 v8, v43 offset:7168
	;; [unrolled: 1-line block ×3, first 2 shown]
	v_cvt_f32_f16_e32 v14, v22
	v_dual_add_f32 v4, v4, v16 :: v_dual_add_f32 v5, v5, v9
	ds_load_u16 v9, v43 offset:7936
	s_wait_dscnt 0x5
	v_dual_add_f32 v2, v3, v2 :: v_dual_add_f32 v5, v5, v12
	v_add_f32_e32 v4, v4, v13
	v_cvt_f32_f16_e32 v3, v24
	v_cvt_f32_f16_e32 v12, v23
	s_wait_dscnt 0x4
	v_cvt_f32_f16_e32 v11, v11
	v_add_f32_e32 v5, v5, v14
	ds_bpermute_b32 v1, v1, v2
	v_add_f32_e32 v3, v4, v3
	s_wait_dscnt 0x4
	v_cvt_f32_f16_e32 v4, v7
	v_cvt_f32_f16_e32 v7, v10
	v_add_f32_e32 v5, v5, v11
	s_wait_dscnt 0x3
	v_cvt_f32_f16_e32 v8, v8
	v_add_f32_e32 v3, v3, v12
	s_delay_alu instid0(VALU_DEP_3) | instskip(SKIP_1) | instid1(VALU_DEP_3)
	v_add_f32_e32 v4, v5, v4
	v_cvt_f32_f16_e32 v5, v6
	v_add_f32_e32 v3, v3, v7
	s_wait_dscnt 0x2
	v_cvt_f32_f16_e32 v6, v15
	s_wait_dscnt 0x1
	v_cvt_f32_f16_e32 v7, v9
	v_dual_add_f32 v4, v4, v8 :: v_dual_add_f32 v3, v3, v5
	s_wait_dscnt 0x0
	s_delay_alu instid0(VALU_DEP_1) | instskip(NEXT) | instid1(VALU_DEP_2)
	v_dual_add_f32 v4, v4, v6 :: v_dual_add_f32 v1, v2, v1
	v_add_f32_e32 v2, v3, v7
	s_delay_alu instid0(VALU_DEP_2) | instskip(SKIP_1) | instid1(VALU_DEP_2)
	v_div_scale_f32 v3, null, v1, v1, v4
	v_div_scale_f32 v10, vcc_lo, v4, v1, v4
	v_rcp_f32_e32 v6, v3
	v_nop
	s_delay_alu instid0(TRANS32_DEP_1) | instskip(NEXT) | instid1(VALU_DEP_1)
	v_fma_f32 v8, -v3, v6, 1.0
	v_fmac_f32_e32 v6, v8, v6
	v_div_scale_f32 v5, null, v1, v1, v2
	v_div_scale_f32 v8, s0, v2, v1, v2
	s_delay_alu instid0(VALU_DEP_2) | instskip(SKIP_1) | instid1(TRANS32_DEP_1)
	v_rcp_f32_e32 v7, v5
	v_nop
	v_fma_f32 v9, -v5, v7, 1.0
	s_delay_alu instid0(VALU_DEP_1) | instskip(NEXT) | instid1(VALU_DEP_1)
	v_dual_fmac_f32 v7, v9, v7 :: v_dual_mul_f32 v9, v10, v6
	v_dual_mul_f32 v11, v8, v7 :: v_dual_fma_f32 v12, -v3, v9, v10
	s_delay_alu instid0(VALU_DEP_1) | instskip(NEXT) | instid1(VALU_DEP_1)
	v_dual_fma_f32 v13, -v5, v11, v8 :: v_dual_fmac_f32 v9, v12, v6
	v_dual_fmac_f32 v11, v13, v7 :: v_dual_fma_f32 v3, -v3, v9, v10
	s_delay_alu instid0(VALU_DEP_1) | instskip(NEXT) | instid1(VALU_DEP_2)
	v_fma_f32 v5, -v5, v11, v8
	v_div_fmas_f32 v3, v3, v6, v9
	s_mov_b32 vcc_lo, s0
	s_wait_kmcnt 0x0
	s_mul_i32 s0, s1, s2
	v_div_fmas_f32 v5, v5, v7, v11
	s_add_co_i32 s0, s0, s33
	v_div_fixup_f32 v3, v3, v1, v4
	s_cmp_eq_u32 s1, 1
	v_lshl_or_b32 v6, s0, 8, v42
	v_div_fixup_f32 v5, v5, v1, v2
	s_cselect_b32 vcc_lo, -1, 0
	s_delay_alu instid0(VALU_DEP_1)
	v_dual_cndmask_b32 v3, v4, v3 :: v_dual_cndmask_b32 v2, v2, v5
	s_clause 0x1
	global_store_b32 v6, v3, s[16:17] scale_offset
	global_store_b32 v6, v2, s[16:17] offset:512 scale_offset
	s_load_b32 s0, s[14:15], 0x4
	v_cmp_eq_u32_e32 vcc_lo, 0, v42
	s_wait_kmcnt 0x0
	s_cmp_lg_u32 s0, 1
	s_cselect_b32 s1, -1, 0
	s_delay_alu instid0(SALU_CYCLE_1) | instskip(NEXT) | instid1(SALU_CYCLE_1)
	s_and_b32 s1, vcc_lo, s1
	s_and_saveexec_b32 s3, s1
	s_cbranch_execz .LBB27_67
; %bb.66:
	s_mul_i32 s0, s0, s2
	s_delay_alu instid0(SALU_CYCLE_1) | instskip(NEXT) | instid1(SALU_CYCLE_1)
	s_add_co_i32 s0, s0, s33
	v_mov_b32_e32 v2, s0
	global_store_b64 v2, v[0:1], s[18:19] scale_offset
.LBB27_67:
	s_sendmsg sendmsg(MSG_DEALLOC_VGPRS)
	s_endpgm
	.section	.rodata,"a",@progbits
	.p2align	6, 0x0
	.amdhsa_kernel _ZL18flash_attn_ext_vecILi256ELi1EL9ggml_type1ELS0_1ELb1EEvPKcS2_S2_S2_S2_PKiPfP15HIP_vector_typeIfLj2EEffffjfiS6_IjLj3EEiiiiiiiiiiiliiliiiiil
		.amdhsa_group_segment_fixed_size 8448
		.amdhsa_private_segment_fixed_size 0
		.amdhsa_kernarg_size 464
		.amdhsa_user_sgpr_count 2
		.amdhsa_user_sgpr_dispatch_ptr 0
		.amdhsa_user_sgpr_queue_ptr 0
		.amdhsa_user_sgpr_kernarg_segment_ptr 1
		.amdhsa_user_sgpr_dispatch_id 0
		.amdhsa_user_sgpr_kernarg_preload_length 0
		.amdhsa_user_sgpr_kernarg_preload_offset 0
		.amdhsa_user_sgpr_private_segment_size 0
		.amdhsa_wavefront_size32 1
		.amdhsa_uses_dynamic_stack 0
		.amdhsa_enable_private_segment 0
		.amdhsa_system_sgpr_workgroup_id_x 1
		.amdhsa_system_sgpr_workgroup_id_y 1
		.amdhsa_system_sgpr_workgroup_id_z 1
		.amdhsa_system_sgpr_workgroup_info 0
		.amdhsa_system_vgpr_workitem_id 1
		.amdhsa_next_free_vgpr 224
		.amdhsa_next_free_sgpr 49
		.amdhsa_named_barrier_count 0
		.amdhsa_reserve_vcc 1
		.amdhsa_float_round_mode_32 0
		.amdhsa_float_round_mode_16_64 0
		.amdhsa_float_denorm_mode_32 3
		.amdhsa_float_denorm_mode_16_64 3
		.amdhsa_fp16_overflow 0
		.amdhsa_memory_ordered 1
		.amdhsa_forward_progress 1
		.amdhsa_inst_pref_size 93
		.amdhsa_round_robin_scheduling 0
		.amdhsa_exception_fp_ieee_invalid_op 0
		.amdhsa_exception_fp_denorm_src 0
		.amdhsa_exception_fp_ieee_div_zero 0
		.amdhsa_exception_fp_ieee_overflow 0
		.amdhsa_exception_fp_ieee_underflow 0
		.amdhsa_exception_fp_ieee_inexact 0
		.amdhsa_exception_int_div_zero 0
	.end_amdhsa_kernel
	.section	.text._ZL18flash_attn_ext_vecILi256ELi1EL9ggml_type1ELS0_1ELb1EEvPKcS2_S2_S2_S2_PKiPfP15HIP_vector_typeIfLj2EEffffjfiS6_IjLj3EEiiiiiiiiiiiliiliiiiil,"axG",@progbits,_ZL18flash_attn_ext_vecILi256ELi1EL9ggml_type1ELS0_1ELb1EEvPKcS2_S2_S2_S2_PKiPfP15HIP_vector_typeIfLj2EEffffjfiS6_IjLj3EEiiiiiiiiiiiliiliiiiil,comdat
.Lfunc_end27:
	.size	_ZL18flash_attn_ext_vecILi256ELi1EL9ggml_type1ELS0_1ELb1EEvPKcS2_S2_S2_S2_PKiPfP15HIP_vector_typeIfLj2EEffffjfiS6_IjLj3EEiiiiiiiiiiiliiliiiiil, .Lfunc_end27-_ZL18flash_attn_ext_vecILi256ELi1EL9ggml_type1ELS0_1ELb1EEvPKcS2_S2_S2_S2_PKiPfP15HIP_vector_typeIfLj2EEffffjfiS6_IjLj3EEiiiiiiiiiiiliiliiiiil
                                        ; -- End function
	.set _ZL18flash_attn_ext_vecILi256ELi1EL9ggml_type1ELS0_1ELb1EEvPKcS2_S2_S2_S2_PKiPfP15HIP_vector_typeIfLj2EEffffjfiS6_IjLj3EEiiiiiiiiiiiliiliiiiil.num_vgpr, 224
	.set _ZL18flash_attn_ext_vecILi256ELi1EL9ggml_type1ELS0_1ELb1EEvPKcS2_S2_S2_S2_PKiPfP15HIP_vector_typeIfLj2EEffffjfiS6_IjLj3EEiiiiiiiiiiiliiliiiiil.num_agpr, 0
	.set _ZL18flash_attn_ext_vecILi256ELi1EL9ggml_type1ELS0_1ELb1EEvPKcS2_S2_S2_S2_PKiPfP15HIP_vector_typeIfLj2EEffffjfiS6_IjLj3EEiiiiiiiiiiiliiliiiiil.numbered_sgpr, 49
	.set _ZL18flash_attn_ext_vecILi256ELi1EL9ggml_type1ELS0_1ELb1EEvPKcS2_S2_S2_S2_PKiPfP15HIP_vector_typeIfLj2EEffffjfiS6_IjLj3EEiiiiiiiiiiiliiliiiiil.num_named_barrier, 0
	.set _ZL18flash_attn_ext_vecILi256ELi1EL9ggml_type1ELS0_1ELb1EEvPKcS2_S2_S2_S2_PKiPfP15HIP_vector_typeIfLj2EEffffjfiS6_IjLj3EEiiiiiiiiiiiliiliiiiil.private_seg_size, 0
	.set _ZL18flash_attn_ext_vecILi256ELi1EL9ggml_type1ELS0_1ELb1EEvPKcS2_S2_S2_S2_PKiPfP15HIP_vector_typeIfLj2EEffffjfiS6_IjLj3EEiiiiiiiiiiiliiliiiiil.uses_vcc, 1
	.set _ZL18flash_attn_ext_vecILi256ELi1EL9ggml_type1ELS0_1ELb1EEvPKcS2_S2_S2_S2_PKiPfP15HIP_vector_typeIfLj2EEffffjfiS6_IjLj3EEiiiiiiiiiiiliiliiiiil.uses_flat_scratch, 0
	.set _ZL18flash_attn_ext_vecILi256ELi1EL9ggml_type1ELS0_1ELb1EEvPKcS2_S2_S2_S2_PKiPfP15HIP_vector_typeIfLj2EEffffjfiS6_IjLj3EEiiiiiiiiiiiliiliiiiil.has_dyn_sized_stack, 0
	.set _ZL18flash_attn_ext_vecILi256ELi1EL9ggml_type1ELS0_1ELb1EEvPKcS2_S2_S2_S2_PKiPfP15HIP_vector_typeIfLj2EEffffjfiS6_IjLj3EEiiiiiiiiiiiliiliiiiil.has_recursion, 0
	.set _ZL18flash_attn_ext_vecILi256ELi1EL9ggml_type1ELS0_1ELb1EEvPKcS2_S2_S2_S2_PKiPfP15HIP_vector_typeIfLj2EEffffjfiS6_IjLj3EEiiiiiiiiiiiliiliiiiil.has_indirect_call, 0
	.section	.AMDGPU.csdata,"",@progbits
; Kernel info:
; codeLenInByte = 11784
; TotalNumSgprs: 51
; NumVgprs: 224
; ScratchSize: 0
; MemoryBound: 0
; FloatMode: 240
; IeeeMode: 1
; LDSByteSize: 8448 bytes/workgroup (compile time only)
; SGPRBlocks: 0
; VGPRBlocks: 13
; NumSGPRsForWavesPerEU: 51
; NumVGPRsForWavesPerEU: 224
; NamedBarCnt: 0
; Occupancy: 4
; WaveLimiterHint : 1
; COMPUTE_PGM_RSRC2:SCRATCH_EN: 0
; COMPUTE_PGM_RSRC2:USER_SGPR: 2
; COMPUTE_PGM_RSRC2:TRAP_HANDLER: 0
; COMPUTE_PGM_RSRC2:TGID_X_EN: 1
; COMPUTE_PGM_RSRC2:TGID_Y_EN: 1
; COMPUTE_PGM_RSRC2:TGID_Z_EN: 1
; COMPUTE_PGM_RSRC2:TIDIG_COMP_CNT: 1
	.section	.text._ZL18flash_attn_ext_vecILi256ELi2EL9ggml_type1ELS0_1ELb0EEvPKcS2_S2_S2_S2_PKiPfP15HIP_vector_typeIfLj2EEffffjfiS6_IjLj3EEiiiiiiiiiiiliiliiiiil,"axG",@progbits,_ZL18flash_attn_ext_vecILi256ELi2EL9ggml_type1ELS0_1ELb0EEvPKcS2_S2_S2_S2_PKiPfP15HIP_vector_typeIfLj2EEffffjfiS6_IjLj3EEiiiiiiiiiiiliiliiiiil,comdat
	.globl	_ZL18flash_attn_ext_vecILi256ELi2EL9ggml_type1ELS0_1ELb0EEvPKcS2_S2_S2_S2_PKiPfP15HIP_vector_typeIfLj2EEffffjfiS6_IjLj3EEiiiiiiiiiiiliiliiiiil ; -- Begin function _ZL18flash_attn_ext_vecILi256ELi2EL9ggml_type1ELS0_1ELb0EEvPKcS2_S2_S2_S2_PKiPfP15HIP_vector_typeIfLj2EEffffjfiS6_IjLj3EEiiiiiiiiiiiliiliiiiil
	.p2align	8
	.type	_ZL18flash_attn_ext_vecILi256ELi2EL9ggml_type1ELS0_1ELb0EEvPKcS2_S2_S2_S2_PKiPfP15HIP_vector_typeIfLj2EEffffjfiS6_IjLj3EEiiiiiiiiiiiliiliiiiil,@function
_ZL18flash_attn_ext_vecILi256ELi2EL9ggml_type1ELS0_1ELb0EEvPKcS2_S2_S2_S2_PKiPfP15HIP_vector_typeIfLj2EEffffjfiS6_IjLj3EEiiiiiiiiiiiliiliiiiil: ; @_ZL18flash_attn_ext_vecILi256ELi2EL9ggml_type1ELS0_1ELb0EEvPKcS2_S2_S2_S2_PKiPfP15HIP_vector_typeIfLj2EEffffjfiS6_IjLj3EEiiiiiiiiiiiliiliiiiil
; %bb.0:
	s_clause 0x2
	s_load_b64 s[34:35], s[0:1], 0x64
	s_load_b64 s[38:39], s[0:1], 0x80
	;; [unrolled: 1-line block ×3, first 2 shown]
	s_bfe_u32 s6, ttmp6, 0x40014
	s_lshr_b32 s5, ttmp7, 16
	s_add_co_i32 s6, s6, 1
	s_bfe_u32 s7, ttmp6, 0x40008
	s_mul_i32 s6, s5, s6
	s_getreg_b32 s37, hwreg(HW_REG_IB_STS2, 6, 4)
	s_add_co_i32 s7, s7, s6
	s_load_b128 s[20:23], s[0:1], 0x40
	v_mov_b32_e32 v64, 1.0
	s_mov_b32 s24, 0
	s_wait_kmcnt 0x0
	s_cvt_f32_u32 s4, s35
	s_sub_co_i32 s8, 0, s35
	s_delay_alu instid0(SALU_CYCLE_2) | instskip(SKIP_1) | instid1(TRANS32_DEP_1)
	v_rcp_iflag_f32_e32 v1, s4
	v_nop
	v_readfirstlane_b32 s4, v1
	s_mul_f32 s4, s4, 0x4f7ffffe
	s_delay_alu instid0(SALU_CYCLE_3) | instskip(NEXT) | instid1(SALU_CYCLE_3)
	s_cvt_u32_f32 s4, s4
	s_mul_i32 s8, s8, s4
	s_delay_alu instid0(SALU_CYCLE_1) | instskip(NEXT) | instid1(SALU_CYCLE_1)
	s_mul_hi_u32 s8, s4, s8
	s_add_co_i32 s4, s4, s8
	s_cmp_eq_u32 s37, 0
	s_cselect_b32 s5, s5, s7
	s_delay_alu instid0(SALU_CYCLE_1) | instskip(NEXT) | instid1(SALU_CYCLE_1)
	s_mul_hi_u32 s4, s5, s4
	s_mul_i32 s6, s4, s35
	s_add_co_i32 s7, s4, 1
	s_sub_co_i32 s6, s5, s6
	s_delay_alu instid0(SALU_CYCLE_1)
	s_sub_co_i32 s8, s6, s35
	s_cmp_ge_u32 s6, s35
	s_cselect_b32 s4, s7, s4
	s_cselect_b32 s6, s8, s6
	s_add_co_i32 s7, s4, 1
	s_cmp_ge_u32 s6, s35
	s_cselect_b32 s36, s7, s4
	s_abs_i32 s4, s39
	s_abs_i32 s9, s35
	s_cvt_f32_u32 s6, s4
	s_sub_co_i32 s7, 0, s4
	s_xor_b32 s8, s35, s39
	s_delay_alu instid0(SALU_CYCLE_1) | instskip(SKIP_2) | instid1(TRANS32_DEP_1)
	v_rcp_iflag_f32_e32 v1, s6
	s_ashr_i32 s8, s8, 31
	v_nop
	v_readfirstlane_b32 s6, v1
	s_mul_f32 s6, s6, 0x4f7ffffe
	s_delay_alu instid0(SALU_CYCLE_3) | instskip(NEXT) | instid1(SALU_CYCLE_3)
	s_cvt_u32_f32 s6, s6
	s_mul_i32 s7, s7, s6
	s_delay_alu instid0(SALU_CYCLE_1) | instskip(NEXT) | instid1(SALU_CYCLE_1)
	s_mul_hi_u32 s7, s6, s7
	s_add_co_i32 s6, s6, s7
	s_mul_i32 s7, s36, s35
	s_mul_hi_u32 s6, s9, s6
	s_sub_co_i32 s33, s5, s7
	s_mul_i32 s10, s6, s4
	s_add_co_i32 s7, s6, 1
	s_sub_co_i32 s5, s9, s10
	s_delay_alu instid0(SALU_CYCLE_1)
	s_sub_co_i32 s9, s5, s4
	s_cmp_ge_u32 s5, s4
	s_cselect_b32 s6, s7, s6
	s_cselect_b32 s5, s9, s5
	s_add_co_i32 s7, s6, 1
	s_cmp_ge_u32 s5, s4
	s_cselect_b32 s4, s7, s6
	s_abs_i32 s2, s2
	s_xor_b32 s5, s4, s8
	s_load_b32 s4, s[0:1], 0x50
	s_sub_co_i32 s39, s5, s8
	s_cvt_f32_u32 s5, s2
	s_abs_i32 s31, s39
	s_cmp_le_f32 s21, 0
	s_cvt_f32_u32 s6, s31
	v_rcp_iflag_f32_e32 v1, s5
	s_delay_alu instid0(SALU_CYCLE_2) | instskip(NEXT) | instid1(TRANS32_DEP_2)
	v_rcp_iflag_f32_e32 v2, s6
	v_readfirstlane_b32 s21, v1
	s_delay_alu instid0(TRANS32_DEP_1)
	v_readfirstlane_b32 s45, v2
	s_cbranch_scc1 .LBB28_2
; %bb.1:
	s_wait_kmcnt 0x0
	v_sub_co_u32 v1, s4, s33, s4
	s_and_b32 s6, s4, exec_lo
	s_cselect_b32 s6, s22, s23
	s_add_co_i32 s7, s33, 1
	v_readfirstlane_b32 s5, v1
	s_lshl_b32 s5, s5, 1
	s_delay_alu instid0(SALU_CYCLE_1) | instskip(SKIP_4) | instid1(SALU_CYCLE_3)
	s_or_b32 s5, s5, 1
	s_and_b32 s4, s4, exec_lo
	s_cselect_b32 s4, s7, s5
	s_cmp_neq_f32 s6, 1.0
	s_cvt_f32_i32 s4, s4
	s_cselect_b32 s5, s4, 1.0
	s_delay_alu instid0(SALU_CYCLE_1) | instskip(SKIP_1) | instid1(SALU_CYCLE_1)
	s_cmp_neq_f32 s5, 0
	s_cselect_b32 s4, s6, 1.0
	v_cvt_f64_f32_e64 v[2:3], |s4|
	s_delay_alu instid0(VALU_DEP_1) | instskip(SKIP_1) | instid1(VALU_DEP_1)
	v_frexp_exp_i32_f64_e32 v1, v[2:3]
	v_frexp_mant_f32_e64 v2, |s4|
	v_readfirstlane_b32 s6, v2
	s_cmp_lt_f32 s6, 0x3f2aaaab
	s_cselect_b32 vcc_lo, -1, 0
	s_delay_alu instid0(SALU_CYCLE_1) | instskip(SKIP_1) | instid1(SALU_CYCLE_1)
	s_and_b32 s7, vcc_lo, exec_lo
	s_cselect_b32 s7, 2.0, 1.0
	s_mul_f32 s6, s6, s7
	s_delay_alu instid0(SALU_CYCLE_3) | instskip(SKIP_1) | instid1(SALU_CYCLE_2)
	s_add_f32 s7, s6, 1.0
	s_add_f32 s9, s6, -1.0
	v_s_rcp_f32 s8, s7
	s_add_f32 s12, s7, -1.0
	v_subrev_co_ci_u32_e64 v1, null, 0, v1, vcc_lo
	s_delay_alu instid0(SALU_CYCLE_2) | instskip(NEXT) | instid1(TRANS32_DEP_1)
	s_sub_f32 s6, s6, s12
	s_mul_f32 s10, s9, s8
	v_cvt_f32_i32_e32 v1, v1
	s_delay_alu instid0(SALU_CYCLE_2) | instskip(NEXT) | instid1(SALU_CYCLE_3)
	s_mul_f32 s11, s7, s10
	v_dual_mov_b32 v3, s9 :: v_dual_mov_b32 v4, s11
	s_xor_b32 s13, s11, 0x80000000
	s_delay_alu instid0(SALU_CYCLE_1) | instskip(NEXT) | instid1(SALU_CYCLE_3)
	s_fmac_f32 s13, s10, s7
	s_fmac_f32 s13, s10, s6
	s_delay_alu instid0(SALU_CYCLE_3) | instskip(SKIP_2) | instid1(SALU_CYCLE_1)
	s_add_f32 s6, s11, s13
	v_mov_b32_e32 v6, s13
	s_mov_b32 s11, 0x3e76c4e1
	s_sub_f32 s7, s9, s6
	v_dual_mov_b32 v2, s6 :: v_dual_mov_b32 v7, s6
	s_delay_alu instid0(SALU_CYCLE_2) | instskip(NEXT) | instid1(VALU_DEP_1)
	v_mov_b32_e32 v5, s7
	v_pk_add_f32 v[2:3], v[2:3], v[4:5] neg_lo:[0,1] neg_hi:[0,1]
	s_delay_alu instid0(VALU_DEP_1) | instskip(NEXT) | instid1(VALU_DEP_1)
	v_pk_add_f32 v[2:3], v[2:3], v[6:7] neg_lo:[0,1] neg_hi:[0,1]
	v_readfirstlane_b32 s6, v3
	s_delay_alu instid0(VALU_DEP_2) | instskip(SKIP_1) | instid1(SALU_CYCLE_3)
	v_readfirstlane_b32 s9, v2
	s_add_f32 s6, s9, s6
	s_add_f32 s6, s7, s6
	s_delay_alu instid0(SALU_CYCLE_3) | instskip(NEXT) | instid1(SALU_CYCLE_3)
	s_mul_f32 s7, s8, s6
	s_add_f32 s6, s10, s7
	s_delay_alu instid0(SALU_CYCLE_3) | instskip(SKIP_1) | instid1(SALU_CYCLE_2)
	s_sub_f32 s8, s6, s10
	s_mul_f32 s9, s6, s6
	s_sub_f32 s10, s7, s8
	s_delay_alu instid0(SALU_CYCLE_2) | instskip(NEXT) | instid1(SALU_CYCLE_1)
	s_xor_b32 s7, s9, 0x80000000
	s_fmac_f32 s7, s6, s6
	s_delay_alu instid0(SALU_CYCLE_1) | instskip(NEXT) | instid1(SALU_CYCLE_3)
	s_add_f32 s8, s10, s10
	s_fmac_f32 s7, s6, s8
	s_delay_alu instid0(SALU_CYCLE_3) | instskip(NEXT) | instid1(SALU_CYCLE_3)
	s_add_f32 s8, s9, s7
	s_fmaak_f32 s11, s8, s11, 0x3e91f4c4
	s_sub_f32 s9, s8, s9
	s_delay_alu instid0(SALU_CYCLE_2) | instskip(NEXT) | instid1(SALU_CYCLE_2)
	s_fmaak_f32 s11, s8, s11, 0x3ecccdef
	s_sub_f32 s14, s7, s9
	s_delay_alu instid0(SALU_CYCLE_2) | instskip(NEXT) | instid1(SALU_CYCLE_3)
	s_mul_f32 s12, s8, s11
	s_xor_b32 s13, s12, 0x80000000
	s_delay_alu instid0(SALU_CYCLE_1) | instskip(NEXT) | instid1(SALU_CYCLE_3)
	s_fmac_f32 s13, s8, s11
	s_fmac_f32 s13, s14, s11
	s_delay_alu instid0(SALU_CYCLE_3) | instskip(NEXT) | instid1(SALU_CYCLE_3)
	s_add_f32 s9, s12, s13
	s_sub_f32 s7, s9, s12
	s_add_f32 s11, s9, 0x3f2aaaaa
	s_delay_alu instid0(SALU_CYCLE_2) | instskip(NEXT) | instid1(SALU_CYCLE_2)
	s_sub_f32 s7, s13, s7
	s_add_f32 s12, s11, 0xbf2aaaaa
	s_delay_alu instid0(SALU_CYCLE_2) | instskip(NEXT) | instid1(SALU_CYCLE_2)
	s_add_f32 s7, s7, 0x31739010
	s_sub_f32 s9, s9, s12
	s_delay_alu instid0(SALU_CYCLE_2) | instskip(NEXT) | instid1(SALU_CYCLE_2)
	v_mov_b64_e32 v[2:3], s[6:7]
	v_mov_b64_e32 v[4:5], s[8:9]
	s_delay_alu instid0(VALU_DEP_1) | instskip(SKIP_2) | instid1(VALU_DEP_3)
	v_pk_mul_f32 v[6:7], v[2:3], v[4:5]
	v_pk_add_f32 v[2:3], v[2:3], v[4:5]
	v_mov_b32_e32 v9, s11
	v_xor_b32_e32 v8, 0x80000000, v6
	s_delay_alu instid0(VALU_DEP_3) | instskip(NEXT) | instid1(VALU_DEP_2)
	v_mov_b32_e32 v7, v3
	v_fmac_f32_e64 v8, s8, s6
	s_delay_alu instid0(VALU_DEP_1) | instskip(NEXT) | instid1(VALU_DEP_1)
	v_fmac_f32_e64 v8, s8, s10
	v_fmac_f32_e64 v8, s14, s6
	s_delay_alu instid0(VALU_DEP_1) | instskip(NEXT) | instid1(VALU_DEP_1)
	v_pk_add_f32 v[4:5], v[6:7], v[8:9]
	v_dual_mov_b32 v2, v5 :: v_dual_sub_f32 v7, s11, v5
	v_mul_f32_e32 v12, 0x3f317218, v1
	s_delay_alu instid0(VALU_DEP_2) | instskip(NEXT) | instid1(VALU_DEP_3)
	v_pk_mul_f32 v[10:11], v[4:5], v[2:3]
	v_add_f32_e32 v3, v3, v7
	s_delay_alu instid0(VALU_DEP_3) | instskip(NEXT) | instid1(VALU_DEP_3)
	v_xor_b32_e32 v7, 0x80000000, v12
	v_xor_b32_e32 v2, 0x80000000, v10
	s_delay_alu instid0(VALU_DEP_2) | instskip(NEXT) | instid1(VALU_DEP_2)
	v_dual_sub_f32 v6, v4, v6 :: v_dual_fmac_f32 v7, 0x3f317218, v1
	v_fmac_f32_e32 v2, v4, v5
	s_delay_alu instid0(VALU_DEP_2) | instskip(NEXT) | instid1(VALU_DEP_2)
	v_sub_f32_e32 v6, v8, v6
	v_fmac_f32_e32 v2, v4, v3
	s_delay_alu instid0(VALU_DEP_1) | instskip(SKIP_3) | instid1(VALU_DEP_2)
	v_fmac_f32_e32 v2, v6, v5
	v_fmamk_f32 v4, v1, 0xb102e308, v7
	v_ldexp_f32 v5, s6, 1
	v_ldexp_f32 v1, s10, 1
	v_dual_add_f32 v13, v10, v2 :: v_dual_mov_b32 v11, v5
	s_delay_alu instid0(VALU_DEP_1) | instskip(SKIP_1) | instid1(VALU_DEP_2)
	v_pk_add_f32 v[6:7], v[12:13], v[4:5]
	v_dual_mov_b32 v8, v13 :: v_dual_mov_b32 v3, v13
	v_dual_mov_b32 v9, v7 :: v_dual_mov_b32 v5, v6
	v_mov_b32_e32 v14, v7
	s_delay_alu instid0(VALU_DEP_2) | instskip(NEXT) | instid1(VALU_DEP_1)
	v_pk_add_f32 v[8:9], v[8:9], v[10:11] neg_lo:[0,1] neg_hi:[0,1]
	v_pk_add_f32 v[2:3], v[2:3], v[8:9] neg_lo:[0,1] neg_hi:[0,1]
	s_delay_alu instid0(VALU_DEP_1) | instskip(NEXT) | instid1(VALU_DEP_1)
	v_add_f32_e32 v1, v1, v2
	v_add_f32_e32 v13, v1, v3
	s_delay_alu instid0(VALU_DEP_1) | instskip(SKIP_1) | instid1(VALU_DEP_2)
	v_pk_add_f32 v[2:3], v[6:7], v[12:13]
	v_pk_add_f32 v[8:9], v[6:7], v[12:13] neg_lo:[0,1] neg_hi:[0,1]
	v_mov_b32_e32 v9, v3
	s_delay_alu instid0(VALU_DEP_1) | instskip(SKIP_2) | instid1(VALU_DEP_3)
	v_pk_add_f32 v[10:11], v[4:5], v[8:9]
	v_pk_add_f32 v[4:5], v[4:5], v[8:9] neg_lo:[0,1] neg_hi:[0,1]
	v_dual_mov_b32 v16, v3 :: v_dual_mov_b32 v5, v6
	v_dual_mov_b32 v12, v11 :: v_dual_mov_b32 v17, v11
	s_delay_alu instid0(VALU_DEP_3) | instskip(NEXT) | instid1(VALU_DEP_2)
	v_readfirstlane_b32 s6, v4
	v_pk_add_f32 v[8:9], v[12:13], v[6:7] neg_lo:[0,1] neg_hi:[0,1]
	s_delay_alu instid0(VALU_DEP_2) | instskip(NEXT) | instid1(VALU_DEP_2)
	v_dual_mov_b32 v4, v13 :: v_dual_mov_b32 v10, s6
	v_dual_mov_b32 v15, v8 :: v_dual_mov_b32 v1, v8
	s_delay_alu instid0(VALU_DEP_1) | instskip(NEXT) | instid1(VALU_DEP_2)
	v_pk_add_f32 v[6:7], v[16:17], v[14:15] neg_lo:[0,1] neg_hi:[0,1]
	v_pk_add_f32 v[2:3], v[2:3], v[0:1] neg_lo:[0,1] neg_hi:[0,1]
	v_mov_b32_e32 v2, s6
	s_delay_alu instid0(VALU_DEP_3) | instskip(NEXT) | instid1(VALU_DEP_1)
	v_pk_add_f32 v[4:5], v[4:5], v[6:7] neg_lo:[0,1] neg_hi:[0,1]
	v_pk_add_f32 v[2:3], v[2:3], v[4:5]
	s_delay_alu instid0(VALU_DEP_1) | instskip(NEXT) | instid1(VALU_DEP_2)
	v_readfirstlane_b32 s7, v2
	v_mov_b32_e32 v6, v3
	s_delay_alu instid0(VALU_DEP_1) | instskip(NEXT) | instid1(VALU_DEP_3)
	v_pk_add_f32 v[6:7], v[2:3], v[6:7]
	v_mov_b32_e32 v2, s7
	s_delay_alu instid0(VALU_DEP_2) | instskip(SKIP_1) | instid1(VALU_DEP_2)
	v_pk_add_f32 v[8:9], v[12:13], v[6:7]
	v_mov_b32_e32 v5, v6
	v_readfirstlane_b32 s8, v8
	s_delay_alu instid0(VALU_DEP_1) | instskip(NEXT) | instid1(VALU_DEP_1)
	v_mov_b32_e32 v3, s8
	v_pk_add_f32 v[2:3], v[2:3], v[10:11] neg_lo:[0,1] neg_hi:[0,1]
	s_delay_alu instid0(VALU_DEP_1) | instskip(NEXT) | instid1(VALU_DEP_2)
	v_readfirstlane_b32 s9, v2
	v_pk_add_f32 v[2:3], v[4:5], v[2:3] neg_lo:[0,1] neg_hi:[0,1]
	s_sub_f32 s7, s7, s9
	s_delay_alu instid0(VALU_DEP_1) | instskip(NEXT) | instid1(SALU_CYCLE_2)
	v_readfirstlane_b32 s9, v2
	s_sub_f32 s6, s6, s7
	v_readfirstlane_b32 s7, v3
	s_delay_alu instid0(SALU_CYCLE_2) | instskip(NEXT) | instid1(SALU_CYCLE_3)
	s_add_f32 s6, s9, s6
	s_add_f32 s6, s6, s7
	s_delay_alu instid0(SALU_CYCLE_3) | instskip(NEXT) | instid1(SALU_CYCLE_3)
	s_add_f32 s7, s8, s6
	s_mul_f32 s9, s5, s7
	s_sub_f32 s8, s7, s8
	s_delay_alu instid0(SALU_CYCLE_2) | instskip(NEXT) | instid1(SALU_CYCLE_2)
	s_xor_b32 s10, s9, 0x80000000
	s_sub_f32 s6, s6, s8
	s_fmac_f32 s10, s5, s7
	s_delay_alu instid0(SALU_CYCLE_3) | instskip(SKIP_1) | instid1(SALU_CYCLE_2)
	s_fmac_f32 s10, s5, s6
	v_cmp_class_f32_e64 s6, s9, 0x204
	s_add_f32 s7, s9, s10
	s_and_b32 s6, s6, exec_lo
	s_delay_alu instid0(SALU_CYCLE_2) | instskip(SKIP_1) | instid1(SALU_CYCLE_1)
	s_sub_f32 s6, s7, s9
	s_cselect_b32 s7, s9, s7
	s_and_b32 s8, s7, 0x7fffffff
	s_delay_alu instid0(SALU_CYCLE_1) | instskip(SKIP_1) | instid1(SALU_CYCLE_2)
	s_sub_f32 s6, s10, s6
	s_cmp_neq_f32 s8, 0x7f800000
	s_cselect_b32 s6, s6, 0
	s_cmp_eq_f32 s7, 0x42b17218
	s_cselect_b32 s8, 0x37000000, 0
	s_delay_alu instid0(SALU_CYCLE_1) | instskip(SKIP_1) | instid1(SALU_CYCLE_2)
	s_sub_f32 s7, s7, s8
	s_add_f32 s6, s8, s6
	s_mul_f32 s9, s7, 0x3fb8aa3b
	s_delay_alu instid0(SALU_CYCLE_3) | instskip(SKIP_3) | instid1(SALU_CYCLE_1)
	s_xor_b32 s10, s9, 0x80000000
	s_rndne_f32 s11, s9
	s_fmamk_f32 s10, s7, 0x3fb8aa3b, s10
	s_cmp_nlt_f32 s7, 0xc2ce8ed0
	s_sub_f32 s9, s9, s11
	s_delay_alu instid0(SALU_CYCLE_1)
	s_fmamk_f32 s10, s7, 0x32a5705f, s10
	s_cselect_b32 vcc_lo, -1, 0
	s_cmp_ngt_f32 s7, 0x42b17218
	s_trunc_f32 s7, s5
	s_add_f32 s9, s9, s10
	s_cvt_i32_f32 s10, s11
	s_delay_alu instid0(SALU_CYCLE_2)
	v_s_exp_f32 s9, s9
	v_nop
	s_delay_alu instid0(TRANS32_DEP_1) | instid1(SALU_CYCLE_1)
	v_ldexp_f32 v1, s9, s10
	s_mul_f32 s9, s5, 0.5
	s_delay_alu instid0(VALU_DEP_1) | instskip(SKIP_3) | instid1(VALU_DEP_1)
	v_cndmask_b32_e32 v1, 0, v1, vcc_lo
	s_cselect_b32 vcc_lo, -1, 0
	s_cmp_eq_f32 s7, s5
	s_trunc_f32 s10, s9
	v_cndmask_b32_e32 v1, 0x7f800000, v1, vcc_lo
	s_cselect_b32 s11, -1, 0
	s_delay_alu instid0(SALU_CYCLE_1) | instskip(NEXT) | instid1(VALU_DEP_1)
	s_cmp_neq_f32 s10, s9
	v_fma_f32 v2, s6, v1, v1
	v_cmp_class_f32_e64 vcc_lo, v1, 0x204
	s_cselect_b32 s8, -1, 0
	s_delay_alu instid0(SALU_CYCLE_1)
	s_and_b32 s6, s11, s8
	v_cndmask_b32_e32 v1, v2, v1, vcc_lo
	s_and_b32 s8, s6, exec_lo
	s_cselect_b32 s8, s4, 1.0
	s_cmp_eq_f32 s7, s5
	v_cmp_class_f32_e64 s7, s4, 0x204
	v_bfi_b32 v1, 0x7fffffff, v1, s8
	s_cselect_b32 vcc_lo, -1, 0
	s_cmp_lt_f32 s4, 0
	s_delay_alu instid0(VALU_DEP_1) | instskip(SKIP_2) | instid1(VALU_DEP_1)
	v_cndmask_b32_e32 v2, 0x7fc00000, v1, vcc_lo
	s_cselect_b32 vcc_lo, -1, 0
	s_cmp_eq_f32 s4, 0
	v_cndmask_b32_e32 v1, v1, v2, vcc_lo
	s_cselect_b32 s8, -1, 0
	s_delay_alu instid0(SALU_CYCLE_1) | instskip(SKIP_2) | instid1(SALU_CYCLE_1)
	s_or_b32 vcc_lo, s8, s7
	s_cmp_lt_f32 s5, 0
	s_cselect_b32 s5, -1, 0
	s_xor_b32 s5, s5, s8
	s_delay_alu instid0(SALU_CYCLE_1)
	s_and_b32 s5, s5, exec_lo
	s_cselect_b32 s5, 0, 0x7f800000
	s_and_b32 s6, s6, exec_lo
	s_cselect_b32 s6, s4, 0
	s_cmp_o_f32 s4, s4
	v_mov_b32_e32 v2, s6
	s_delay_alu instid0(VALU_DEP_1) | instskip(NEXT) | instid1(VALU_DEP_1)
	v_bfi_b32 v2, 0x7fffffff, s5, v2
	v_cndmask_b32_e32 v1, v1, v2, vcc_lo
	s_cselect_b32 vcc_lo, -1, 0
	s_delay_alu instid0(VALU_DEP_1)
	v_cndmask_b32_e32 v64, 0x7fc00000, v1, vcc_lo
.LBB28_2:
	s_load_b96 s[28:30], s[0:1], 0x70
	s_wait_kmcnt 0x0
	s_load_b512 s[4:19], s[0:1], 0x0
	s_bfe_u32 s23, ttmp6, 0x4000c
	s_and_b32 s22, ttmp6, 15
	s_add_co_i32 s23, s23, 1
	v_and_b32_e32 v7, 0x3ff, v0
	s_mul_i32 s23, ttmp9, s23
	s_mov_b32 s25, s24
	s_add_co_i32 s22, s22, s23
	s_cmp_eq_u32 s37, 0
	s_mov_b32 s26, s24
	s_cselect_b32 s22, ttmp9, s22
	s_mov_b32 s27, s24
	s_lshl_b32 s40, s22, 1
	v_mov_b64_e32 v[8:9], s[24:25]
	v_dual_mov_b32 v2, 0 :: v_dual_lshlrev_b32 v61, 2, v7
	v_mov_b64_e32 v[10:11], s[26:27]
	s_clause 0x1
	scratch_store_b32 off, v2, off
	scratch_store_b128 off, v[8:11], off offset:4
	s_mul_i32 s23, s36, s30
	s_mul_i32 s25, s28, s40
	;; [unrolled: 1-line block ×3, first 2 shown]
	s_add_co_i32 s23, s23, s25
	v_and_b32_e32 v6, 28, v61
	s_add_co_i32 s26, s23, s26
	v_dual_mov_b32 v3, v2 :: v_dual_mov_b32 v4, v2
	s_ashr_i32 s27, s26, 31
	s_cmp_lt_i32 s40, s34
	v_lshlrev_b32_e32 v19, 3, v6
	s_cselect_b32 s46, -1, 0
	s_cmp_ge_i32 s40, s34
	s_wait_kmcnt 0x0
	s_add_nc_u64 s[4:5], s[4:5], s[26:27]
	s_cselect_b32 s42, -1, 0
	s_clause 0x1
	scratch_store_b128 off, v[8:11], off offset:20
	scratch_store_b128 off, v[8:11], off offset:36
	s_and_b32 vcc_lo, exec_lo, s42
	s_clause 0x4
	scratch_store_b128 off, v[8:11], off offset:52
	scratch_store_b128 off, v[8:11], off offset:68
	;; [unrolled: 1-line block ×4, first 2 shown]
	scratch_store_b96 off, v[2:4], off offset:116
	s_cbranch_vccnz .LBB28_7
; %bb.3:
	s_clause 0x1
	global_load_b128 v[2:5], v19, s[4:5]
	global_load_b128 v[10:13], v19, s[4:5] offset:16
	s_wait_loadcnt 0x1
	v_cvt_pk_f16_f32 v2, v2, v3
	v_cvt_pk_f16_f32 v9, v4, v5
	s_wait_loadcnt 0x0
	v_cvt_pk_f16_f32 v10, v10, v11
	v_cvt_pk_f16_f32 v12, v12, v13
	s_and_not1_b32 vcc_lo, exec_lo, s46
	s_cbranch_vccz .LBB28_8
.LBB28_4:
	v_dual_mov_b32 v17, 0 :: v_dual_mov_b32 v18, 0
	v_dual_mov_b32 v8, 0 :: v_dual_mov_b32 v5, 0
	s_and_not1_b32 vcc_lo, exec_lo, s46
	s_cbranch_vccz .LBB28_9
.LBB28_5:
	v_dual_mov_b32 v15, 0 :: v_dual_mov_b32 v16, 0
	s_wait_xcnt 0x0
	v_dual_mov_b32 v14, 0 :: v_dual_mov_b32 v4, 0
	s_and_not1_b32 vcc_lo, exec_lo, s46
	s_cbranch_vccz .LBB28_10
.LBB28_6:
	v_dual_mov_b32 v13, 0 :: v_dual_mov_b32 v11, 0
	v_dual_mov_b32 v3, 0 :: v_dual_mov_b32 v1, 0
	s_branch .LBB28_11
.LBB28_7:
	s_wait_xcnt 0x1
	v_dual_mov_b32 v9, 0 :: v_dual_mov_b32 v10, 0
	v_mov_b32_e32 v12, 0
	s_and_not1_b32 vcc_lo, exec_lo, s46
	s_cbranch_vccnz .LBB28_4
.LBB28_8:
	s_clause 0x1
	global_load_b128 v[20:23], v19, s[4:5] offset:256
	global_load_b128 v[24:27], v19, s[4:5] offset:272
	s_wait_loadcnt 0x1
	v_cvt_pk_f16_f32 v17, v20, v21
	v_cvt_pk_f16_f32 v18, v22, v23
	s_wait_loadcnt 0x0
	v_cvt_pk_f16_f32 v8, v24, v25
	v_cvt_pk_f16_f32 v5, v26, v27
	s_and_not1_b32 vcc_lo, exec_lo, s46
	s_cbranch_vccnz .LBB28_5
.LBB28_9:
	s_clause 0x1
	global_load_b128 v[20:23], v19, s[4:5] offset:512
	global_load_b128 v[24:27], v19, s[4:5] offset:528
	s_wait_loadcnt 0x1
	v_cvt_pk_f16_f32 v15, v20, v21
	v_cvt_pk_f16_f32 v16, v22, v23
	s_wait_loadcnt 0x0
	v_cvt_pk_f16_f32 v14, v24, v25
	s_wait_xcnt 0x2
	v_cvt_pk_f16_f32 v4, v26, v27
	s_and_not1_b32 vcc_lo, exec_lo, s46
	s_cbranch_vccnz .LBB28_6
.LBB28_10:
	s_clause 0x1
	global_load_b128 v[20:23], v19, s[4:5] offset:768
	global_load_b128 v[24:27], v19, s[4:5] offset:784
	s_wait_loadcnt 0x1
	v_cvt_pk_f16_f32 v13, v20, v21
	v_cvt_pk_f16_f32 v11, v22, v23
	s_wait_loadcnt 0x0
	v_cvt_pk_f16_f32 v3, v24, v25
	v_cvt_pk_f16_f32 v1, v26, v27
.LBB28_11:
	s_or_b32 s23, s40, 1
	s_ashr_i32 s29, s28, 31
	s_cmp_lt_i32 s23, s34
	s_wait_xcnt 0x0
	s_add_nc_u64 s[4:5], s[4:5], s[28:29]
	s_cselect_b32 s47, -1, 0
	s_cmp_ge_i32 s23, s34
	s_cbranch_scc1 .LBB28_16
; %bb.12:
	s_clause 0x1
	global_load_b128 v[20:23], v19, s[4:5]
	global_load_b128 v[24:27], v19, s[4:5] offset:16
	s_wait_loadcnt 0x1
	v_cvt_pk_f16_f32 v20, v20, v21
	v_cvt_pk_f16_f32 v21, v22, v23
	s_wait_loadcnt 0x0
	v_cvt_pk_f16_f32 v22, v24, v25
	v_cvt_pk_f16_f32 v23, v26, v27
	v_cndmask_b32_e64 v60, 0, 1, s47
	s_and_not1_b32 vcc_lo, exec_lo, s47
	s_cbranch_vccz .LBB28_17
.LBB28_13:
	v_dual_mov_b32 v24, 0 :: v_dual_mov_b32 v25, 0
	v_dual_mov_b32 v26, 0 :: v_dual_mov_b32 v27, 0
	s_and_not1_b32 vcc_lo, exec_lo, s47
	s_cbranch_vccz .LBB28_18
.LBB28_14:
	v_dual_mov_b32 v28, 0 :: v_dual_mov_b32 v29, 0
	v_dual_mov_b32 v30, 0 :: v_dual_mov_b32 v31, 0
	s_and_not1_b32 vcc_lo, exec_lo, s47
	s_cbranch_vccz .LBB28_19
.LBB28_15:
	s_wait_xcnt 0x0
	v_dual_mov_b32 v19, 0 :: v_dual_mov_b32 v32, 0
	v_dual_mov_b32 v33, 0 :: v_dual_mov_b32 v34, 0
	s_cmp_eq_u64 s[14:15], 0
	s_mov_b32 s43, s38
	s_cbranch_scc0 .LBB28_20
	s_branch .LBB28_21
.LBB28_16:
	v_dual_mov_b32 v20, 0 :: v_dual_mov_b32 v21, 0
	v_dual_mov_b32 v22, 0 :: v_dual_mov_b32 v23, 0
	v_cndmask_b32_e64 v60, 0, 1, s47
	s_and_not1_b32 vcc_lo, exec_lo, s47
	s_cbranch_vccnz .LBB28_13
.LBB28_17:
	s_clause 0x1
	global_load_b128 v[24:27], v19, s[4:5] offset:256
	global_load_b128 v[28:31], v19, s[4:5] offset:272
	s_wait_loadcnt 0x1
	v_cvt_pk_f16_f32 v24, v24, v25
	v_cvt_pk_f16_f32 v25, v26, v27
	s_wait_loadcnt 0x0
	v_cvt_pk_f16_f32 v26, v28, v29
	v_cvt_pk_f16_f32 v27, v30, v31
	s_and_not1_b32 vcc_lo, exec_lo, s47
	s_cbranch_vccnz .LBB28_14
.LBB28_18:
	s_clause 0x1
	global_load_b128 v[28:31], v19, s[4:5] offset:512
	global_load_b128 v[32:35], v19, s[4:5] offset:528
	s_wait_loadcnt 0x1
	v_cvt_pk_f16_f32 v28, v28, v29
	v_cvt_pk_f16_f32 v29, v30, v31
	s_wait_loadcnt 0x0
	v_cvt_pk_f16_f32 v30, v32, v33
	v_cvt_pk_f16_f32 v31, v34, v35
	s_and_not1_b32 vcc_lo, exec_lo, s47
	s_cbranch_vccnz .LBB28_15
.LBB28_19:
	s_clause 0x1
	global_load_b128 v[32:35], v19, s[4:5] offset:768
	global_load_b128 v[36:39], v19, s[4:5] offset:784
	s_wait_loadcnt 0x1
	s_wait_xcnt 0x0
	v_cvt_pk_f16_f32 v19, v32, v33
	v_cvt_pk_f16_f32 v32, v34, v35
	s_wait_loadcnt 0x0
	v_cvt_pk_f16_f32 v33, v36, v37
	v_cvt_pk_f16_f32 v34, v38, v39
	s_cmp_eq_u64 s[14:15], 0
	s_mov_b32 s43, s38
	s_cbranch_scc1 .LBB28_21
.LBB28_20:
	s_load_b32 s4, s[0:1], 0xd0
	s_wait_kmcnt 0x0
	s_mul_i32 s4, s4, s36
	s_delay_alu instid0(SALU_CYCLE_1)
	s_add_co_i32 s4, s4, s22
	s_load_b32 s43, s[14:15], s4 offset:0x0 scale_offset
.LBB28_21:
	v_bfe_u32 v62, v0, 10, 10
	s_bfe_u32 s5, ttmp6, 0x40010
	s_wait_xcnt 0x0
	s_and_b32 s4, ttmp7, 0xffff
	s_add_co_i32 s5, s5, 1
	s_bfe_u32 s14, ttmp6, 0x40004
	v_lshlrev_b32_e32 v0, 5, v62
	s_mul_i32 s5, s4, s5
	v_mbcnt_lo_u32_b32 v63, -1, 0
	s_add_co_i32 s14, s14, s5
	s_cmp_eq_u32 s37, 0
	v_add_nc_u32_e32 v58, v0, v7
	s_cselect_b32 s41, s4, s14
	s_mov_b32 s25, 0
	s_lshl_b32 s44, s41, 7
	s_add_nc_u64 s[14:15], s[0:1], 0xd0
	v_lshlrev_b32_e32 v59, 1, v58
	s_wait_kmcnt 0x0
	s_cmp_ge_i32 s44, s43
	s_cbranch_scc1 .LBB28_57
; %bb.22:
	s_mul_f32 s4, s45, 0x4f7ffffe
	s_mul_f32 s5, s21, 0x4f7ffffe
	s_sub_co_i32 s21, 0, s31
	s_sub_co_i32 s22, 0, s2
	s_cvt_u32_f32 s23, s4
	s_cvt_u32_f32 s5, s5
	s_cvt_f16_f32 s20, s20
	s_abs_i32 s28, s33
	s_mul_i32 s21, s21, s23
	s_mul_i32 s22, s22, s5
	s_mul_hi_u32 s21, s23, s21
	s_mul_hi_u32 s26, s5, s22
	s_abs_i32 s4, s36
	s_add_co_i32 s22, s23, s21
	s_add_co_i32 s26, s5, s26
	s_mov_b32 s29, s24
	s_mov_b32 s23, s24
	;; [unrolled: 1-line block ×4, first 2 shown]
	s_and_b32 s20, 0xffff, s20
	s_ashr_i32 s30, s39, 31
	s_mul_u64 s[48:49], s[28:29], s[22:23]
	s_mul_i32 s39, s20, 0x10001
	s_mul_u64 s[50:51], s[4:5], s[26:27]
	s_clause 0x1
	s_load_b64 s[26:27], s[0:1], 0x8c
	s_load_b128 s[20:23], s[0:1], 0x98
	s_mul_i32 s5, s49, s31
	s_ashr_i32 s24, s33, 31
	s_sub_co_i32 s5, s28, s5
	s_ashr_i32 s37, s36, 31
	s_xor_b32 s24, s24, s30
	s_add_co_i32 s28, s49, 1
	s_sub_co_i32 s29, s5, s31
	v_pk_mul_f16 v99, v2, s39
	s_cmp_ge_u32 s5, s31
	v_and_b32_e32 v2, 0x78, v7
	s_cselect_b32 s28, s28, s49
	s_cselect_b32 s5, s29, s5
	s_add_co_i32 s29, s28, 1
	v_pk_mul_f16 v105, v8, s39
	s_cmp_ge_u32 s5, s31
	v_add_nc_u32_e32 v8, v0, v2
	s_cselect_b32 s5, s29, s28
	v_pk_mul_f16 v101, v10, s39
	s_xor_b32 s5, s5, s24
	s_clause 0x1
	s_load_b64 s[30:31], s[0:1], 0xa8
	s_load_b64 s[48:49], s[0:1], 0xc8
	s_wait_kmcnt 0x0
	v_mul_lo_u32 v10, v8, s26
	s_sub_co_i32 s5, s5, s24
	s_mul_i32 s24, s51, s2
	s_mul_i32 s28, s5, s27
	;; [unrolled: 1-line block ×3, first 2 shown]
	s_sub_co_i32 s4, s4, s24
	s_ashr_i32 s29, s28, 31
	s_ashr_i32 s51, s50, 31
	s_sub_co_i32 s5, s4, s2
	s_cmp_ge_u32 s4, s2
	v_pk_mul_f16 v102, v12, s39
	s_cselect_b32 s4, s5, s4
	v_add_nc_u32_e32 v12, s26, v10
	s_sub_co_i32 s5, s4, s2
	s_cmp_ge_u32 s4, s2
	v_pk_mul_f16 v103, v17, s39
	s_cselect_b32 s2, s5, s4
	v_pk_mul_f16 v109, v14, s39
	s_xor_b32 s2, s2, s37
	v_dual_mov_b32 v17, 0 :: v_dual_add_nc_u32 v14, s26, v12
	s_mul_u64 s[4:5], s[20:21], s[36:37]
	s_sub_co_i32 s20, s2, s37
	v_pk_mul_f16 v104, v18, s39
	s_ashr_i32 s21, s20, 31
	s_add_nc_u64 s[4:5], s[6:7], s[4:5]
	s_mul_u64 s[6:7], s[48:49], s[20:21]
	s_mul_i32 s2, s3, s40
	v_pk_mul_f16 v114, v1, s39
	v_dual_add_nc_u32 v18, s26, v14 :: v_dual_bitop2_b32 v1, 7, v7 bitop3:0x40
	v_lshrrev_b32_e32 v2, 3, v7
	s_mul_u64 s[20:21], s[30:31], s[36:37]
	s_add_nc_u64 s[6:7], s[10:11], s[6:7]
	s_ashr_i32 s3, s2, 31
	s_add_nc_u64 s[8:9], s[8:9], s[20:21]
	s_add_nc_u64 s[2:3], s[6:7], s[2:3]
	s_lshl_b32 s24, s44, 1
	v_pk_mul_f16 v83, v20, s39
	v_pk_mul_f16 v85, v22, s39
	;; [unrolled: 1-line block ×3, first 2 shown]
	v_dual_add_nc_u32 v20, s38, v8 :: v_dual_add_nc_u32 v22, s26, v18
	v_dual_add_nc_u32 v3, v0, v2 :: v_dual_bitop2_b32 v0, v0, v2 bitop3:0x54
	s_add_nc_u64 s[6:7], s[8:9], s[50:51]
	s_add_nc_u64 s[20:21], s[2:3], s[24:25]
	s_mul_i32 s24, s22, s44
	s_add_nc_u64 s[2:3], s[4:5], s[28:29]
	s_add_nc_u64 s[28:29], s[6:7], s[24:25]
	s_mul_i32 s24, s26, s44
	v_pk_mul_f16 v84, v21, s39
	v_pk_mul_f16 v86, v23, s39
	;; [unrolled: 1-line block ×3, first 2 shown]
	s_add_nc_u64 s[30:31], s[2:3], s[24:25]
	v_cmp_eq_u32_e64 s2, 0, v1
	v_ashrrev_i32_e32 v21, 31, v20
	v_cmp_eq_u32_e64 s3, 1, v1
	v_cmp_eq_u32_e64 s4, 2, v1
	;; [unrolled: 1-line block ×3, first 2 shown]
	v_ashrrev_i32_e32 v23, 31, v22
	v_cmp_eq_u32_e64 s6, 4, v1
	v_cmp_eq_u32_e64 s7, 5, v1
	v_cmp_eq_u32_e64 s8, 6, v1
	v_cmp_eq_u32_e64 s9, 7, v1
	v_dual_add_nc_u32 v1, 4, v3 :: v_dual_add_nc_u32 v2, 8, v3
	v_add_nc_u32_e32 v4, 12, v3
	v_pk_mul_f16 v96, v32, s39
	v_pk_mul_f16 v98, v34, s39
	;; [unrolled: 1-line block ×3, first 2 shown]
	v_or_b32_e32 v5, 16, v0
	v_mul_lo_u32 v32, v1, s22
	v_mul_lo_u32 v34, v2, s22
	v_add_nc_u32_e32 v1, 20, v3
	v_mul_lo_u32 v36, v4, s22
	v_dual_add_nc_u32 v2, 24, v3 :: v_dual_add_nc_u32 v4, 28, v3
	v_pk_mul_f16 v87, v24, s39
	v_pk_mul_f16 v111, v13, s39
	v_dual_ashrrev_i32 v13, 31, v12 :: v_dual_add_nc_u32 v24, s26, v22
	v_pk_mul_f16 v93, v30, s39
	v_mul_lo_u32 v30, v0, s22
	v_mul_lo_u32 v38, v5, s22
	;; [unrolled: 1-line block ×5, first 2 shown]
	v_pk_mul_f16 v89, v26, s39
	v_pk_mul_f16 v107, v15, s39
	v_dual_ashrrev_i32 v15, 31, v14 :: v_dual_add_nc_u32 v26, s26, v24
	v_dual_lshlrev_b32 v65, 1, v0 :: v_dual_lshlrev_b32 v0, 3, v7
	v_pk_mul_f16 v100, v9, s39
	v_pk_mul_f16 v112, v11, s39
	v_dual_ashrrev_i32 v11, 31, v10 :: v_dual_mov_b32 v9, v17
	s_cmp_lg_u64 s[10:11], 0
	v_pk_mul_f16 v91, v28, s39
	v_dual_add_nc_u32 v28, s26, v26 :: v_dual_bitop2_b32 v0, 56, v0 bitop3:0x40
	v_ashrrev_i32_e32 v43, 31, v42
	v_pk_mul_f16 v88, v25, s39
	v_pk_mul_f16 v90, v27, s39
	;; [unrolled: 1-line block ×7, first 2 shown]
	s_cselect_b32 s24, -1, 0
	s_ashr_i32 s39, s38, 31
	v_dual_ashrrev_i32 v19, 31, v18 :: v_dual_ashrrev_i32 v25, 31, v24
	v_add_nc_u64_e32 v[48:49], s[38:39], v[8:9]
	v_dual_ashrrev_i32 v27, 31, v26 :: v_dual_ashrrev_i32 v29, 31, v28
	v_dual_ashrrev_i32 v31, 31, v30 :: v_dual_ashrrev_i32 v33, 31, v32
	;; [unrolled: 1-line block ×4, first 2 shown]
	v_dual_lshlrev_b32 v66, 1, v3 :: v_dual_ashrrev_i32 v45, 31, v44
	v_dual_lshlrev_b32 v16, 2, v6 :: v_dual_lshlrev_b32 v46, 1, v0
	v_dual_mov_b32 v4, v17 :: v_dual_mov_b32 v5, v17
	v_dual_mov_b32 v50, v17 :: v_dual_mov_b32 v51, v17
	v_mov_b32_e32 v67, 0xfeffffff
	v_mov_b32_e32 v9, 0xfeffffff
	s_add_nc_u64 s[10:11], s[0:1], 0xd0
	s_and_b32 s23, s24, s46
	s_and_b32 s27, s24, s47
.LBB28_23:                              ; =>This Inner Loop Header: Depth=1
	v_add_nc_u64_e32 v[52:53], s[30:31], v[16:17]
	v_dual_mov_b32 v72, v17 :: v_dual_bitop2_b32 v47, 24, v63 bitop3:0x40
	s_wait_xcnt 0x2
	s_delay_alu instid0(VALU_DEP_2)
	v_add_nc_u64_e32 v[54:55], v[52:53], v[10:11]
	global_load_b128 v[0:3], v[54:55], off
	s_wait_loadcnt 0x0
	;;#ASMSTART
	v_dot2_f32_f16 v72, v0, v99, v72
	;;#ASMEND
	;;#ASMSTART
	v_dot2_f32_f16 v72, v1, v100, v72
	;;#ASMEND
	;;#ASMSTART
	v_dot2_f32_f16 v72, v2, v101, v72
	;;#ASMEND
	;;#ASMSTART
	v_dot2_f32_f16 v72, v3, v102, v72
	;;#ASMEND
	global_load_b128 v[68:71], v[54:55], off offset:128
	s_wait_loadcnt 0x0
	;;#ASMSTART
	v_dot2_f32_f16 v72, v68, v103, v72
	;;#ASMEND
	;;#ASMSTART
	v_dot2_f32_f16 v72, v69, v104, v72
	;;#ASMEND
	;;#ASMSTART
	v_dot2_f32_f16 v72, v70, v105, v72
	;;#ASMEND
	;;#ASMSTART
	v_dot2_f32_f16 v72, v71, v106, v72
	;;#ASMEND
	global_load_b128 v[68:71], v[54:55], off offset:256
	;; [unrolled: 14-line block ×3, first 2 shown]
	s_wait_loadcnt 0x0
	;;#ASMSTART
	v_dot2_f32_f16 v72, v68, v111, v72
	;;#ASMEND
	;;#ASMSTART
	v_dot2_f32_f16 v72, v69, v112, v72
	;;#ASMEND
	;; [unrolled: 3-line block ×4, first 2 shown]
	v_xor_b32_e32 v68, 2, v63
	v_xor_b32_e32 v56, 4, v63
	v_add_nc_u32_e32 v57, 8, v47
	v_xor_b32_e32 v69, 1, v63
	s_delay_alu instid0(VALU_DEP_2) | instskip(SKIP_2) | instid1(VALU_DEP_2)
	v_cmp_lt_i32_e32 vcc_lo, v56, v57
	v_cndmask_b32_e32 v47, v63, v56, vcc_lo
	v_cmp_lt_i32_e32 vcc_lo, v68, v57
	v_dual_cndmask_b32 v68, v63, v68 :: v_dual_lshlrev_b32 v47, 2, v47
	v_cmp_lt_i32_e32 vcc_lo, v69, v57
	s_delay_alu instid0(VALU_DEP_2)
	v_lshlrev_b32_e32 v81, 2, v68
	ds_bpermute_b32 v56, v47, v72
	s_wait_dscnt 0x0
	v_add_f32_e32 v56, v72, v56
	ds_bpermute_b32 v68, v81, v56
	v_cndmask_b32_e32 v57, v63, v69, vcc_lo
	s_and_b32 vcc_lo, exec_lo, s23
	s_wait_dscnt 0x0
	s_delay_alu instid0(VALU_DEP_1)
	v_dual_add_f32 v56, v56, v68 :: v_dual_lshlrev_b32 v82, 2, v57
	ds_bpermute_b32 v57, v82, v56
	s_wait_dscnt 0x0
	v_add_f32_e32 v68, v56, v57
	s_cbranch_vccz .LBB28_25
; %bb.24:                               ;   in Loop: Header=BB28_23 Depth=1
	global_load_u16 v56, v8, s[20:21] scale_offset
	s_wait_loadcnt 0x0
	v_fma_mix_f32 v68, v64, v56, v68 op_sel_hi:[0,1,0]
.LBB28_25:                              ;   in Loop: Header=BB28_23 Depth=1
	v_mov_b32_e32 v56, v17
	;;#ASMSTART
	v_dot2_f32_f16 v56, v0, v83, v56
	;;#ASMEND
	;;#ASMSTART
	v_dot2_f32_f16 v56, v1, v84, v56
	;;#ASMEND
	;;#ASMSTART
	v_dot2_f32_f16 v56, v2, v85, v56
	;;#ASMEND
	;;#ASMSTART
	v_dot2_f32_f16 v56, v3, v86, v56
	;;#ASMEND
	global_load_b128 v[0:3], v[54:55], off offset:128
	s_wait_loadcnt 0x0
	;;#ASMSTART
	v_dot2_f32_f16 v56, v0, v87, v56
	;;#ASMEND
	;;#ASMSTART
	v_dot2_f32_f16 v56, v1, v88, v56
	;;#ASMEND
	;;#ASMSTART
	v_dot2_f32_f16 v56, v2, v89, v56
	;;#ASMEND
	;;#ASMSTART
	v_dot2_f32_f16 v56, v3, v90, v56
	;;#ASMEND
	global_load_b128 v[0:3], v[54:55], off offset:256
	s_wait_loadcnt 0x0
	;; [unrolled: 14-line block ×3, first 2 shown]
	;;#ASMSTART
	v_dot2_f32_f16 v56, v0, v95, v56
	;;#ASMEND
	;;#ASMSTART
	v_dot2_f32_f16 v56, v1, v96, v56
	;;#ASMEND
	;; [unrolled: 3-line block ×4, first 2 shown]
	ds_bpermute_b32 v0, v47, v56
	s_and_not1_b32 vcc_lo, exec_lo, s27
	s_wait_dscnt 0x0
	v_add_f32_e32 v0, v56, v0
	ds_bpermute_b32 v1, v81, v0
	s_wait_dscnt 0x0
	v_add_f32_e32 v0, v0, v1
	ds_bpermute_b32 v1, v82, v0
	s_wait_dscnt 0x0
	v_add_f32_e32 v69, v0, v1
	s_cbranch_vccnz .LBB28_27
; %bb.26:                               ;   in Loop: Header=BB28_23 Depth=1
	v_lshl_add_u64 v[0:1], v[20:21], 1, s[20:21]
	global_load_u16 v0, v[0:1], off
	s_wait_loadcnt 0x0
	v_fma_mix_f32 v69, v64, v0, v69 op_sel_hi:[0,1,0]
.LBB28_27:                              ;   in Loop: Header=BB28_23 Depth=1
	s_wait_xcnt 0x0
	v_add_nc_u64_e32 v[54:55], v[52:53], v[12:13]
	v_mov_b32_e32 v57, v17
	s_and_not1_b32 vcc_lo, exec_lo, s23
	global_load_b128 v[0:3], v[54:55], off
	s_wait_loadcnt 0x0
	;;#ASMSTART
	v_dot2_f32_f16 v57, v0, v99, v57
	;;#ASMEND
	;;#ASMSTART
	v_dot2_f32_f16 v57, v1, v100, v57
	;;#ASMEND
	;;#ASMSTART
	v_dot2_f32_f16 v57, v2, v101, v57
	;;#ASMEND
	;;#ASMSTART
	v_dot2_f32_f16 v57, v3, v102, v57
	;;#ASMEND
	global_load_b128 v[70:73], v[54:55], off offset:128
	s_wait_loadcnt 0x0
	;;#ASMSTART
	v_dot2_f32_f16 v57, v70, v103, v57
	;;#ASMEND
	;;#ASMSTART
	v_dot2_f32_f16 v57, v71, v104, v57
	;;#ASMEND
	;;#ASMSTART
	v_dot2_f32_f16 v57, v72, v105, v57
	;;#ASMEND
	;;#ASMSTART
	v_dot2_f32_f16 v57, v73, v106, v57
	;;#ASMEND
	global_load_b128 v[70:73], v[54:55], off offset:256
	;; [unrolled: 14-line block ×3, first 2 shown]
	s_wait_loadcnt 0x0
	;;#ASMSTART
	v_dot2_f32_f16 v57, v70, v111, v57
	;;#ASMEND
	;;#ASMSTART
	v_dot2_f32_f16 v57, v71, v112, v57
	;;#ASMEND
	;; [unrolled: 3-line block ×4, first 2 shown]
	ds_bpermute_b32 v56, v47, v57
	s_wait_dscnt 0x0
	v_add_f32_e32 v56, v57, v56
	ds_bpermute_b32 v57, v81, v56
	s_wait_dscnt 0x0
	v_add_f32_e32 v56, v56, v57
	ds_bpermute_b32 v57, v82, v56
	s_wait_dscnt 0x0
	v_add_f32_e32 v70, v56, v57
	s_cbranch_vccnz .LBB28_29
; %bb.28:                               ;   in Loop: Header=BB28_23 Depth=1
	global_load_u16 v56, v8, s[20:21] offset:2 scale_offset
	s_wait_loadcnt 0x0
	v_fma_mix_f32 v70, v64, v56, v70 op_sel_hi:[0,1,0]
.LBB28_29:                              ;   in Loop: Header=BB28_23 Depth=1
	v_mov_b32_e32 v56, v17
	;;#ASMSTART
	v_dot2_f32_f16 v56, v0, v83, v56
	;;#ASMEND
	;;#ASMSTART
	v_dot2_f32_f16 v56, v1, v84, v56
	;;#ASMEND
	;;#ASMSTART
	v_dot2_f32_f16 v56, v2, v85, v56
	;;#ASMEND
	;;#ASMSTART
	v_dot2_f32_f16 v56, v3, v86, v56
	;;#ASMEND
	global_load_b128 v[0:3], v[54:55], off offset:128
	s_wait_loadcnt 0x0
	;;#ASMSTART
	v_dot2_f32_f16 v56, v0, v87, v56
	;;#ASMEND
	;;#ASMSTART
	v_dot2_f32_f16 v56, v1, v88, v56
	;;#ASMEND
	;;#ASMSTART
	v_dot2_f32_f16 v56, v2, v89, v56
	;;#ASMEND
	;;#ASMSTART
	v_dot2_f32_f16 v56, v3, v90, v56
	;;#ASMEND
	global_load_b128 v[0:3], v[54:55], off offset:256
	s_wait_loadcnt 0x0
	;; [unrolled: 14-line block ×3, first 2 shown]
	;;#ASMSTART
	v_dot2_f32_f16 v56, v0, v95, v56
	;;#ASMEND
	;;#ASMSTART
	v_dot2_f32_f16 v56, v1, v96, v56
	;;#ASMEND
	;; [unrolled: 3-line block ×4, first 2 shown]
	ds_bpermute_b32 v0, v47, v56
	s_wait_xcnt 0x0
	v_lshl_add_u64 v[54:55], v[48:49], 1, s[20:21]
	s_and_not1_b32 vcc_lo, exec_lo, s27
	s_wait_dscnt 0x0
	v_add_f32_e32 v0, v56, v0
	ds_bpermute_b32 v1, v81, v0
	s_wait_dscnt 0x0
	v_add_f32_e32 v0, v0, v1
	ds_bpermute_b32 v1, v82, v0
	s_wait_dscnt 0x0
	v_add_f32_e32 v71, v0, v1
	s_cbranch_vccnz .LBB28_31
; %bb.30:                               ;   in Loop: Header=BB28_23 Depth=1
	global_load_u16 v0, v[54:55], off offset:2
	s_wait_loadcnt 0x0
	v_fma_mix_f32 v71, v64, v0, v71 op_sel_hi:[0,1,0]
.LBB28_31:                              ;   in Loop: Header=BB28_23 Depth=1
	v_add_nc_u64_e32 v[56:57], v[52:53], v[14:15]
	v_mov_b32_e32 v76, v17
	s_and_not1_b32 vcc_lo, exec_lo, s23
	global_load_b128 v[0:3], v[56:57], off
	s_wait_loadcnt 0x0
	;;#ASMSTART
	v_dot2_f32_f16 v76, v0, v99, v76
	;;#ASMEND
	;;#ASMSTART
	v_dot2_f32_f16 v76, v1, v100, v76
	;;#ASMEND
	;;#ASMSTART
	v_dot2_f32_f16 v76, v2, v101, v76
	;;#ASMEND
	;;#ASMSTART
	v_dot2_f32_f16 v76, v3, v102, v76
	;;#ASMEND
	global_load_b128 v[72:75], v[56:57], off offset:128
	s_wait_loadcnt 0x0
	;;#ASMSTART
	v_dot2_f32_f16 v76, v72, v103, v76
	;;#ASMEND
	;;#ASMSTART
	v_dot2_f32_f16 v76, v73, v104, v76
	;;#ASMEND
	;;#ASMSTART
	v_dot2_f32_f16 v76, v74, v105, v76
	;;#ASMEND
	;;#ASMSTART
	v_dot2_f32_f16 v76, v75, v106, v76
	;;#ASMEND
	global_load_b128 v[72:75], v[56:57], off offset:256
	;; [unrolled: 14-line block ×3, first 2 shown]
	s_wait_loadcnt 0x0
	;;#ASMSTART
	v_dot2_f32_f16 v76, v72, v111, v76
	;;#ASMEND
	;;#ASMSTART
	v_dot2_f32_f16 v76, v73, v112, v76
	;;#ASMEND
	;; [unrolled: 3-line block ×4, first 2 shown]
	ds_bpermute_b32 v72, v47, v76
	s_wait_dscnt 0x0
	v_add_f32_e32 v72, v76, v72
	ds_bpermute_b32 v73, v81, v72
	s_wait_dscnt 0x0
	v_add_f32_e32 v72, v72, v73
	;; [unrolled: 3-line block ×3, first 2 shown]
	s_cbranch_vccnz .LBB28_33
; %bb.32:                               ;   in Loop: Header=BB28_23 Depth=1
	global_load_u16 v73, v8, s[20:21] offset:4 scale_offset
	s_wait_loadcnt 0x0
	v_fma_mix_f32 v72, v64, v73, v72 op_sel_hi:[0,1,0]
.LBB28_33:                              ;   in Loop: Header=BB28_23 Depth=1
	v_mov_b32_e32 v73, v17
	;;#ASMSTART
	v_dot2_f32_f16 v73, v0, v83, v73
	;;#ASMEND
	;;#ASMSTART
	v_dot2_f32_f16 v73, v1, v84, v73
	;;#ASMEND
	;;#ASMSTART
	v_dot2_f32_f16 v73, v2, v85, v73
	;;#ASMEND
	;;#ASMSTART
	v_dot2_f32_f16 v73, v3, v86, v73
	;;#ASMEND
	global_load_b128 v[0:3], v[56:57], off offset:128
	s_wait_loadcnt 0x0
	;;#ASMSTART
	v_dot2_f32_f16 v73, v0, v87, v73
	;;#ASMEND
	;;#ASMSTART
	v_dot2_f32_f16 v73, v1, v88, v73
	;;#ASMEND
	;;#ASMSTART
	v_dot2_f32_f16 v73, v2, v89, v73
	;;#ASMEND
	;;#ASMSTART
	v_dot2_f32_f16 v73, v3, v90, v73
	;;#ASMEND
	global_load_b128 v[0:3], v[56:57], off offset:256
	s_wait_loadcnt 0x0
	;; [unrolled: 14-line block ×3, first 2 shown]
	;;#ASMSTART
	v_dot2_f32_f16 v73, v0, v95, v73
	;;#ASMEND
	;;#ASMSTART
	v_dot2_f32_f16 v73, v1, v96, v73
	;;#ASMEND
	;; [unrolled: 3-line block ×4, first 2 shown]
	ds_bpermute_b32 v0, v47, v73
	s_and_not1_b32 vcc_lo, exec_lo, s27
	s_wait_dscnt 0x0
	v_add_f32_e32 v0, v73, v0
	ds_bpermute_b32 v1, v81, v0
	s_wait_dscnt 0x0
	v_add_f32_e32 v0, v0, v1
	ds_bpermute_b32 v1, v82, v0
	s_wait_dscnt 0x0
	v_add_f32_e32 v73, v0, v1
	s_cbranch_vccnz .LBB28_35
; %bb.34:                               ;   in Loop: Header=BB28_23 Depth=1
	global_load_u16 v0, v[54:55], off offset:4
	s_wait_loadcnt 0x0
	v_fma_mix_f32 v73, v64, v0, v73 op_sel_hi:[0,1,0]
.LBB28_35:                              ;   in Loop: Header=BB28_23 Depth=1
	s_wait_xcnt 0x0
	v_add_nc_u64_e32 v[56:57], v[52:53], v[18:19]
	v_mov_b32_e32 v78, v17
	s_and_not1_b32 vcc_lo, exec_lo, s23
	global_load_b128 v[0:3], v[56:57], off
	s_wait_loadcnt 0x0
	;;#ASMSTART
	v_dot2_f32_f16 v78, v0, v99, v78
	;;#ASMEND
	;;#ASMSTART
	v_dot2_f32_f16 v78, v1, v100, v78
	;;#ASMEND
	;;#ASMSTART
	v_dot2_f32_f16 v78, v2, v101, v78
	;;#ASMEND
	;;#ASMSTART
	v_dot2_f32_f16 v78, v3, v102, v78
	;;#ASMEND
	global_load_b128 v[74:77], v[56:57], off offset:128
	s_wait_loadcnt 0x0
	;;#ASMSTART
	v_dot2_f32_f16 v78, v74, v103, v78
	;;#ASMEND
	;;#ASMSTART
	v_dot2_f32_f16 v78, v75, v104, v78
	;;#ASMEND
	;;#ASMSTART
	v_dot2_f32_f16 v78, v76, v105, v78
	;;#ASMEND
	;;#ASMSTART
	v_dot2_f32_f16 v78, v77, v106, v78
	;;#ASMEND
	global_load_b128 v[74:77], v[56:57], off offset:256
	;; [unrolled: 14-line block ×3, first 2 shown]
	s_wait_loadcnt 0x0
	;;#ASMSTART
	v_dot2_f32_f16 v78, v74, v111, v78
	;;#ASMEND
	;;#ASMSTART
	v_dot2_f32_f16 v78, v75, v112, v78
	;;#ASMEND
	;; [unrolled: 3-line block ×4, first 2 shown]
	ds_bpermute_b32 v74, v47, v78
	s_wait_dscnt 0x0
	v_add_f32_e32 v74, v78, v74
	ds_bpermute_b32 v75, v81, v74
	s_wait_dscnt 0x0
	v_add_f32_e32 v74, v74, v75
	;; [unrolled: 3-line block ×3, first 2 shown]
	s_cbranch_vccnz .LBB28_37
; %bb.36:                               ;   in Loop: Header=BB28_23 Depth=1
	global_load_u16 v75, v8, s[20:21] offset:6 scale_offset
	s_wait_loadcnt 0x0
	v_fma_mix_f32 v74, v64, v75, v74 op_sel_hi:[0,1,0]
.LBB28_37:                              ;   in Loop: Header=BB28_23 Depth=1
	v_mov_b32_e32 v75, v17
	;;#ASMSTART
	v_dot2_f32_f16 v75, v0, v83, v75
	;;#ASMEND
	;;#ASMSTART
	v_dot2_f32_f16 v75, v1, v84, v75
	;;#ASMEND
	;;#ASMSTART
	v_dot2_f32_f16 v75, v2, v85, v75
	;;#ASMEND
	;;#ASMSTART
	v_dot2_f32_f16 v75, v3, v86, v75
	;;#ASMEND
	global_load_b128 v[0:3], v[56:57], off offset:128
	s_wait_loadcnt 0x0
	;;#ASMSTART
	v_dot2_f32_f16 v75, v0, v87, v75
	;;#ASMEND
	;;#ASMSTART
	v_dot2_f32_f16 v75, v1, v88, v75
	;;#ASMEND
	;;#ASMSTART
	v_dot2_f32_f16 v75, v2, v89, v75
	;;#ASMEND
	;;#ASMSTART
	v_dot2_f32_f16 v75, v3, v90, v75
	;;#ASMEND
	global_load_b128 v[0:3], v[56:57], off offset:256
	s_wait_loadcnt 0x0
	;; [unrolled: 14-line block ×3, first 2 shown]
	;;#ASMSTART
	v_dot2_f32_f16 v75, v0, v95, v75
	;;#ASMEND
	;;#ASMSTART
	v_dot2_f32_f16 v75, v1, v96, v75
	;;#ASMEND
	;; [unrolled: 3-line block ×4, first 2 shown]
	ds_bpermute_b32 v0, v47, v75
	s_and_not1_b32 vcc_lo, exec_lo, s27
	s_wait_dscnt 0x0
	v_add_f32_e32 v0, v75, v0
	ds_bpermute_b32 v1, v81, v0
	s_wait_dscnt 0x0
	v_add_f32_e32 v0, v0, v1
	ds_bpermute_b32 v1, v82, v0
	s_wait_dscnt 0x0
	v_add_f32_e32 v75, v0, v1
	s_cbranch_vccnz .LBB28_39
; %bb.38:                               ;   in Loop: Header=BB28_23 Depth=1
	global_load_u16 v0, v[54:55], off offset:6
	s_wait_loadcnt 0x0
	v_fma_mix_f32 v75, v64, v0, v75 op_sel_hi:[0,1,0]
.LBB28_39:                              ;   in Loop: Header=BB28_23 Depth=1
	s_wait_xcnt 0x0
	v_add_nc_u64_e32 v[56:57], v[52:53], v[22:23]
	v_mov_b32_e32 v80, v17
	s_and_not1_b32 vcc_lo, exec_lo, s23
	global_load_b128 v[0:3], v[56:57], off
	s_wait_loadcnt 0x0
	;;#ASMSTART
	v_dot2_f32_f16 v80, v0, v99, v80
	;;#ASMEND
	;;#ASMSTART
	v_dot2_f32_f16 v80, v1, v100, v80
	;;#ASMEND
	;;#ASMSTART
	v_dot2_f32_f16 v80, v2, v101, v80
	;;#ASMEND
	;;#ASMSTART
	v_dot2_f32_f16 v80, v3, v102, v80
	;;#ASMEND
	global_load_b128 v[76:79], v[56:57], off offset:128
	s_wait_loadcnt 0x0
	;;#ASMSTART
	v_dot2_f32_f16 v80, v76, v103, v80
	;;#ASMEND
	;;#ASMSTART
	v_dot2_f32_f16 v80, v77, v104, v80
	;;#ASMEND
	;;#ASMSTART
	v_dot2_f32_f16 v80, v78, v105, v80
	;;#ASMEND
	;;#ASMSTART
	v_dot2_f32_f16 v80, v79, v106, v80
	;;#ASMEND
	global_load_b128 v[76:79], v[56:57], off offset:256
	;; [unrolled: 14-line block ×3, first 2 shown]
	s_wait_loadcnt 0x0
	;;#ASMSTART
	v_dot2_f32_f16 v80, v76, v111, v80
	;;#ASMEND
	;;#ASMSTART
	v_dot2_f32_f16 v80, v77, v112, v80
	;;#ASMEND
	;; [unrolled: 3-line block ×4, first 2 shown]
	ds_bpermute_b32 v76, v47, v80
	s_wait_dscnt 0x0
	v_add_f32_e32 v76, v80, v76
	ds_bpermute_b32 v77, v81, v76
	s_wait_dscnt 0x0
	v_add_f32_e32 v76, v76, v77
	;; [unrolled: 3-line block ×3, first 2 shown]
	s_cbranch_vccnz .LBB28_41
; %bb.40:                               ;   in Loop: Header=BB28_23 Depth=1
	global_load_u16 v77, v8, s[20:21] offset:8 scale_offset
	s_wait_loadcnt 0x0
	v_fma_mix_f32 v76, v64, v77, v76 op_sel_hi:[0,1,0]
.LBB28_41:                              ;   in Loop: Header=BB28_23 Depth=1
	v_mov_b32_e32 v77, v17
	;;#ASMSTART
	v_dot2_f32_f16 v77, v0, v83, v77
	;;#ASMEND
	;;#ASMSTART
	v_dot2_f32_f16 v77, v1, v84, v77
	;;#ASMEND
	;;#ASMSTART
	v_dot2_f32_f16 v77, v2, v85, v77
	;;#ASMEND
	;;#ASMSTART
	v_dot2_f32_f16 v77, v3, v86, v77
	;;#ASMEND
	global_load_b128 v[0:3], v[56:57], off offset:128
	s_wait_loadcnt 0x0
	;;#ASMSTART
	v_dot2_f32_f16 v77, v0, v87, v77
	;;#ASMEND
	;;#ASMSTART
	v_dot2_f32_f16 v77, v1, v88, v77
	;;#ASMEND
	;;#ASMSTART
	v_dot2_f32_f16 v77, v2, v89, v77
	;;#ASMEND
	;;#ASMSTART
	v_dot2_f32_f16 v77, v3, v90, v77
	;;#ASMEND
	global_load_b128 v[0:3], v[56:57], off offset:256
	s_wait_loadcnt 0x0
	;; [unrolled: 14-line block ×3, first 2 shown]
	;;#ASMSTART
	v_dot2_f32_f16 v77, v0, v95, v77
	;;#ASMEND
	;;#ASMSTART
	v_dot2_f32_f16 v77, v1, v96, v77
	;;#ASMEND
	;; [unrolled: 3-line block ×4, first 2 shown]
	ds_bpermute_b32 v0, v47, v77
	s_and_not1_b32 vcc_lo, exec_lo, s27
	s_wait_dscnt 0x0
	v_add_f32_e32 v0, v77, v0
	ds_bpermute_b32 v1, v81, v0
	s_wait_dscnt 0x0
	v_add_f32_e32 v0, v0, v1
	ds_bpermute_b32 v1, v82, v0
	s_wait_dscnt 0x0
	v_add_f32_e32 v77, v0, v1
	s_cbranch_vccnz .LBB28_43
; %bb.42:                               ;   in Loop: Header=BB28_23 Depth=1
	global_load_u16 v0, v[54:55], off offset:8
	s_wait_loadcnt 0x0
	v_fma_mix_f32 v77, v64, v0, v77 op_sel_hi:[0,1,0]
.LBB28_43:                              ;   in Loop: Header=BB28_23 Depth=1
	s_wait_xcnt 0x0
	v_add_nc_u64_e32 v[56:57], v[52:53], v[24:25]
	v_mov_b32_e32 v79, v17
	s_and_not1_b32 vcc_lo, exec_lo, s23
	global_load_b128 v[0:3], v[56:57], off
	s_wait_loadcnt 0x0
	;;#ASMSTART
	v_dot2_f32_f16 v79, v0, v99, v79
	;;#ASMEND
	;;#ASMSTART
	v_dot2_f32_f16 v79, v1, v100, v79
	;;#ASMEND
	;;#ASMSTART
	v_dot2_f32_f16 v79, v2, v101, v79
	;;#ASMEND
	;;#ASMSTART
	v_dot2_f32_f16 v79, v3, v102, v79
	;;#ASMEND
	global_load_b128 v[116:119], v[56:57], off offset:128
	s_wait_loadcnt 0x0
	;;#ASMSTART
	v_dot2_f32_f16 v79, v116, v103, v79
	;;#ASMEND
	;;#ASMSTART
	v_dot2_f32_f16 v79, v117, v104, v79
	;;#ASMEND
	;;#ASMSTART
	v_dot2_f32_f16 v79, v118, v105, v79
	;;#ASMEND
	;;#ASMSTART
	v_dot2_f32_f16 v79, v119, v106, v79
	;;#ASMEND
	global_load_b128 v[116:119], v[56:57], off offset:256
	;; [unrolled: 14-line block ×3, first 2 shown]
	s_wait_loadcnt 0x0
	;;#ASMSTART
	v_dot2_f32_f16 v79, v116, v111, v79
	;;#ASMEND
	;;#ASMSTART
	v_dot2_f32_f16 v79, v117, v112, v79
	;;#ASMEND
	;; [unrolled: 3-line block ×4, first 2 shown]
	ds_bpermute_b32 v78, v47, v79
	s_wait_dscnt 0x0
	v_add_f32_e32 v78, v79, v78
	ds_bpermute_b32 v79, v81, v78
	s_wait_dscnt 0x0
	v_add_f32_e32 v78, v78, v79
	;; [unrolled: 3-line block ×3, first 2 shown]
	s_cbranch_vccnz .LBB28_45
; %bb.44:                               ;   in Loop: Header=BB28_23 Depth=1
	global_load_u16 v79, v8, s[20:21] offset:10 scale_offset
	s_wait_loadcnt 0x0
	v_fma_mix_f32 v78, v64, v79, v78 op_sel_hi:[0,1,0]
.LBB28_45:                              ;   in Loop: Header=BB28_23 Depth=1
	v_mov_b32_e32 v79, v17
	;;#ASMSTART
	v_dot2_f32_f16 v79, v0, v83, v79
	;;#ASMEND
	;;#ASMSTART
	v_dot2_f32_f16 v79, v1, v84, v79
	;;#ASMEND
	;;#ASMSTART
	v_dot2_f32_f16 v79, v2, v85, v79
	;;#ASMEND
	;;#ASMSTART
	v_dot2_f32_f16 v79, v3, v86, v79
	;;#ASMEND
	global_load_b128 v[0:3], v[56:57], off offset:128
	s_wait_loadcnt 0x0
	;;#ASMSTART
	v_dot2_f32_f16 v79, v0, v87, v79
	;;#ASMEND
	;;#ASMSTART
	v_dot2_f32_f16 v79, v1, v88, v79
	;;#ASMEND
	;;#ASMSTART
	v_dot2_f32_f16 v79, v2, v89, v79
	;;#ASMEND
	;;#ASMSTART
	v_dot2_f32_f16 v79, v3, v90, v79
	;;#ASMEND
	global_load_b128 v[0:3], v[56:57], off offset:256
	s_wait_loadcnt 0x0
	;; [unrolled: 14-line block ×3, first 2 shown]
	;;#ASMSTART
	v_dot2_f32_f16 v79, v0, v95, v79
	;;#ASMEND
	;;#ASMSTART
	v_dot2_f32_f16 v79, v1, v96, v79
	;;#ASMEND
	;; [unrolled: 3-line block ×4, first 2 shown]
	ds_bpermute_b32 v0, v47, v79
	s_and_not1_b32 vcc_lo, exec_lo, s27
	s_wait_dscnt 0x0
	v_add_f32_e32 v0, v79, v0
	ds_bpermute_b32 v1, v81, v0
	s_wait_dscnt 0x0
	v_add_f32_e32 v0, v0, v1
	ds_bpermute_b32 v1, v82, v0
	s_wait_dscnt 0x0
	v_add_f32_e32 v79, v0, v1
	s_cbranch_vccnz .LBB28_47
; %bb.46:                               ;   in Loop: Header=BB28_23 Depth=1
	global_load_u16 v0, v[54:55], off offset:10
	s_wait_loadcnt 0x0
	v_fma_mix_f32 v79, v64, v0, v79 op_sel_hi:[0,1,0]
.LBB28_47:                              ;   in Loop: Header=BB28_23 Depth=1
	s_wait_xcnt 0x0
	v_add_nc_u64_e32 v[56:57], v[52:53], v[26:27]
	v_mov_b32_e32 v115, v17
	s_and_not1_b32 vcc_lo, exec_lo, s23
	global_load_b128 v[0:3], v[56:57], off
	s_wait_loadcnt 0x0
	;;#ASMSTART
	v_dot2_f32_f16 v115, v0, v99, v115
	;;#ASMEND
	;;#ASMSTART
	v_dot2_f32_f16 v115, v1, v100, v115
	;;#ASMEND
	;;#ASMSTART
	v_dot2_f32_f16 v115, v2, v101, v115
	;;#ASMEND
	;;#ASMSTART
	v_dot2_f32_f16 v115, v3, v102, v115
	;;#ASMEND
	global_load_b128 v[116:119], v[56:57], off offset:128
	s_wait_loadcnt 0x0
	;;#ASMSTART
	v_dot2_f32_f16 v115, v116, v103, v115
	;;#ASMEND
	;;#ASMSTART
	v_dot2_f32_f16 v115, v117, v104, v115
	;;#ASMEND
	;;#ASMSTART
	v_dot2_f32_f16 v115, v118, v105, v115
	;;#ASMEND
	;;#ASMSTART
	v_dot2_f32_f16 v115, v119, v106, v115
	;;#ASMEND
	global_load_b128 v[116:119], v[56:57], off offset:256
	;; [unrolled: 14-line block ×3, first 2 shown]
	s_wait_loadcnt 0x0
	;;#ASMSTART
	v_dot2_f32_f16 v115, v116, v111, v115
	;;#ASMEND
	;;#ASMSTART
	v_dot2_f32_f16 v115, v117, v112, v115
	;;#ASMEND
	;; [unrolled: 3-line block ×4, first 2 shown]
	ds_bpermute_b32 v80, v47, v115
	s_wait_dscnt 0x0
	v_add_f32_e32 v80, v115, v80
	ds_bpermute_b32 v115, v81, v80
	s_wait_dscnt 0x0
	v_add_f32_e32 v80, v80, v115
	;; [unrolled: 3-line block ×3, first 2 shown]
	s_cbranch_vccnz .LBB28_49
; %bb.48:                               ;   in Loop: Header=BB28_23 Depth=1
	global_load_u16 v115, v8, s[20:21] offset:12 scale_offset
	s_wait_loadcnt 0x0
	v_fma_mix_f32 v80, v64, v115, v80 op_sel_hi:[0,1,0]
.LBB28_49:                              ;   in Loop: Header=BB28_23 Depth=1
	v_mov_b32_e32 v115, v17
	;;#ASMSTART
	v_dot2_f32_f16 v115, v0, v83, v115
	;;#ASMEND
	;;#ASMSTART
	v_dot2_f32_f16 v115, v1, v84, v115
	;;#ASMEND
	;;#ASMSTART
	v_dot2_f32_f16 v115, v2, v85, v115
	;;#ASMEND
	;;#ASMSTART
	v_dot2_f32_f16 v115, v3, v86, v115
	;;#ASMEND
	global_load_b128 v[0:3], v[56:57], off offset:128
	s_wait_loadcnt 0x0
	;;#ASMSTART
	v_dot2_f32_f16 v115, v0, v87, v115
	;;#ASMEND
	;;#ASMSTART
	v_dot2_f32_f16 v115, v1, v88, v115
	;;#ASMEND
	;;#ASMSTART
	v_dot2_f32_f16 v115, v2, v89, v115
	;;#ASMEND
	;;#ASMSTART
	v_dot2_f32_f16 v115, v3, v90, v115
	;;#ASMEND
	global_load_b128 v[0:3], v[56:57], off offset:256
	s_wait_loadcnt 0x0
	;; [unrolled: 14-line block ×3, first 2 shown]
	;;#ASMSTART
	v_dot2_f32_f16 v115, v0, v95, v115
	;;#ASMEND
	;;#ASMSTART
	v_dot2_f32_f16 v115, v1, v96, v115
	;;#ASMEND
	;; [unrolled: 3-line block ×4, first 2 shown]
	ds_bpermute_b32 v0, v47, v115
	s_and_not1_b32 vcc_lo, exec_lo, s27
	s_wait_dscnt 0x0
	v_add_f32_e32 v0, v115, v0
	ds_bpermute_b32 v1, v81, v0
	s_wait_dscnt 0x0
	v_add_f32_e32 v0, v0, v1
	ds_bpermute_b32 v1, v82, v0
	s_wait_dscnt 0x0
	s_wait_xcnt 0x0
	v_add_f32_e32 v56, v0, v1
	s_cbranch_vccnz .LBB28_51
; %bb.50:                               ;   in Loop: Header=BB28_23 Depth=1
	global_load_u16 v0, v[54:55], off offset:12
	s_wait_loadcnt 0x0
	v_fma_mix_f32 v56, v64, v0, v56 op_sel_hi:[0,1,0]
.LBB28_51:                              ;   in Loop: Header=BB28_23 Depth=1
	v_add_nc_u64_e32 v[52:53], v[52:53], v[28:29]
	v_mov_b32_e32 v115, v17
	s_and_not1_b32 vcc_lo, exec_lo, s23
	global_load_b128 v[0:3], v[52:53], off
	s_wait_loadcnt 0x0
	;;#ASMSTART
	v_dot2_f32_f16 v115, v0, v99, v115
	;;#ASMEND
	;;#ASMSTART
	v_dot2_f32_f16 v115, v1, v100, v115
	;;#ASMEND
	;;#ASMSTART
	v_dot2_f32_f16 v115, v2, v101, v115
	;;#ASMEND
	;;#ASMSTART
	v_dot2_f32_f16 v115, v3, v102, v115
	;;#ASMEND
	global_load_b128 v[116:119], v[52:53], off offset:128
	s_wait_loadcnt 0x0
	;;#ASMSTART
	v_dot2_f32_f16 v115, v116, v103, v115
	;;#ASMEND
	;;#ASMSTART
	v_dot2_f32_f16 v115, v117, v104, v115
	;;#ASMEND
	;;#ASMSTART
	v_dot2_f32_f16 v115, v118, v105, v115
	;;#ASMEND
	;;#ASMSTART
	v_dot2_f32_f16 v115, v119, v106, v115
	;;#ASMEND
	global_load_b128 v[116:119], v[52:53], off offset:256
	;; [unrolled: 14-line block ×3, first 2 shown]
	s_wait_loadcnt 0x0
	;;#ASMSTART
	v_dot2_f32_f16 v115, v116, v111, v115
	;;#ASMEND
	;;#ASMSTART
	v_dot2_f32_f16 v115, v117, v112, v115
	;;#ASMEND
	;; [unrolled: 3-line block ×4, first 2 shown]
	ds_bpermute_b32 v57, v47, v115
	s_wait_dscnt 0x0
	v_add_f32_e32 v57, v115, v57
	ds_bpermute_b32 v115, v81, v57
	s_wait_dscnt 0x0
	v_add_f32_e32 v57, v57, v115
	;; [unrolled: 3-line block ×3, first 2 shown]
	s_cbranch_vccnz .LBB28_53
; %bb.52:                               ;   in Loop: Header=BB28_23 Depth=1
	global_load_u16 v115, v8, s[20:21] offset:14 scale_offset
	s_wait_loadcnt 0x0
	v_fma_mix_f32 v57, v64, v115, v57 op_sel_hi:[0,1,0]
.LBB28_53:                              ;   in Loop: Header=BB28_23 Depth=1
	v_mov_b32_e32 v115, v17
	;;#ASMSTART
	v_dot2_f32_f16 v115, v0, v83, v115
	;;#ASMEND
	;;#ASMSTART
	v_dot2_f32_f16 v115, v1, v84, v115
	;;#ASMEND
	;;#ASMSTART
	v_dot2_f32_f16 v115, v2, v85, v115
	;;#ASMEND
	;;#ASMSTART
	v_dot2_f32_f16 v115, v3, v86, v115
	;;#ASMEND
	global_load_b128 v[0:3], v[52:53], off offset:128
	s_wait_loadcnt 0x0
	;;#ASMSTART
	v_dot2_f32_f16 v115, v0, v87, v115
	;;#ASMEND
	;;#ASMSTART
	v_dot2_f32_f16 v115, v1, v88, v115
	;;#ASMEND
	;;#ASMSTART
	v_dot2_f32_f16 v115, v2, v89, v115
	;;#ASMEND
	;;#ASMSTART
	v_dot2_f32_f16 v115, v3, v90, v115
	;;#ASMEND
	global_load_b128 v[0:3], v[52:53], off offset:256
	s_wait_loadcnt 0x0
	;; [unrolled: 14-line block ×3, first 2 shown]
	;;#ASMSTART
	v_dot2_f32_f16 v115, v0, v95, v115
	;;#ASMEND
	;;#ASMSTART
	v_dot2_f32_f16 v115, v1, v96, v115
	;;#ASMEND
	;;#ASMSTART
	v_dot2_f32_f16 v115, v2, v97, v115
	;;#ASMEND
	;;#ASMSTART
	v_dot2_f32_f16 v115, v3, v98, v115
	;;#ASMEND
	ds_bpermute_b32 v0, v47, v115
	s_and_not1_b32 vcc_lo, exec_lo, s27
	s_wait_dscnt 0x0
	v_add_f32_e32 v0, v115, v0
	ds_bpermute_b32 v1, v81, v0
	s_wait_dscnt 0x0
	v_add_f32_e32 v0, v0, v1
	ds_bpermute_b32 v1, v82, v0
	s_wait_dscnt 0x0
	s_wait_xcnt 0x0
	v_add_f32_e32 v53, v0, v1
	s_cbranch_vccnz .LBB28_55
; %bb.54:                               ;   in Loop: Header=BB28_23 Depth=1
	global_load_u16 v0, v[54:55], off offset:14
	s_wait_loadcnt 0x0
	v_fma_mix_f32 v53, v64, v0, v53 op_sel_hi:[0,1,0]
.LBB28_55:                              ;   in Loop: Header=BB28_23 Depth=1
	scratch_load_b128 v[116:119], off, off offset:16
	v_dual_mov_b32 v47, v17 :: v_dual_add_f32 v52, 0x40051340, v68
	s_wait_xcnt 0x1
	v_dual_add_f32 v54, 0x40051340, v70 :: v_dual_add_f32 v55, 0x40051340, v72
	v_dual_add_f32 v126, 0x40051340, v69 :: v_dual_add_f32 v127, 0x40051340, v71
	;; [unrolled: 1-line block ×3, first 2 shown]
	v_add_f32_e32 v125, 0x40051340, v57
	v_xor_b32_e32 v128, 8, v63
	v_dual_add_f32 v129, 0x40051340, v73 :: v_dual_add_f32 v130, 0x40051340, v79
	v_max3_num_f32 v52, v67, v52, v54
	v_add_f32_e32 v54, 0x40051340, v75
	v_max3_num_f32 v126, v9, v126, v127
	v_dual_add_f32 v115, 0x40051340, v78 :: v_dual_add_f32 v124, 0x40051340, v80
	v_add_f32_e32 v127, 0x40051340, v77
	v_max3_num_f32 v52, v52, v55, v81
	s_delay_alu instid0(VALU_DEP_4)
	v_max3_num_f32 v54, v126, v129, v54
	v_cmp_gt_i32_e32 vcc_lo, 32, v128
	v_add_f32_e32 v55, 0x40051340, v56
	v_add_nc_u64_e32 v[0:1], s[28:29], v[30:31]
	v_max3_num_f32 v52, v52, v82, v115
	v_dual_add_f32 v82, 0x40051340, v53 :: v_dual_cndmask_b32 v81, v63, v128
	v_max3_num_f32 v54, v54, v127, v130
	v_add_nc_u64_e32 v[132:133], s[28:29], v[38:39]
	s_delay_alu instid0(VALU_DEP_4)
	v_max3_num_f32 v52, v52, v124, v125
	v_add_nc_u64_e32 v[184:185], v[0:1], v[46:47]
	scratch_load_b128 v[120:123], off, off
	global_load_b128 v[0:3], v[184:185], off
	v_max3_num_f32 v54, v54, v55, v82
	v_dual_lshlrev_b32 v81, 2, v81 :: v_dual_bitop2_b32 v82, 16, v63 bitop3:0x14
	v_add_nc_u64_e32 v[124:125], s[28:29], v[36:37]
	v_add_nc_u64_e32 v[216:217], v[132:133], v[46:47]
	;; [unrolled: 1-line block ×3, first 2 shown]
	s_delay_alu instid0(VALU_DEP_4)
	v_cmp_gt_i32_e32 vcc_lo, 32, v82
	ds_bpermute_b32 v55, v81, v52
	ds_bpermute_b32 v81, v81, v54
	v_cndmask_b32_e64 v50, v50, v68, s2
	v_add_nc_u64_e32 v[208:209], v[124:125], v[46:47]
	v_cndmask_b32_e32 v68, v63, v82, vcc_lo
	v_add_nc_u64_e32 v[224:225], v[140:141], v[46:47]
	v_add_nc_u64_e32 v[148:149], s[28:29], v[42:43]
	;; [unrolled: 1-line block ×3, first 2 shown]
	s_mov_b32 s39, s25
	v_lshlrev_b32_e32 v68, 2, v68
	s_delay_alu instid0(VALU_DEP_3) | instskip(NEXT) | instid1(VALU_DEP_3)
	v_add_nc_u64_e32 v[232:233], v[148:149], v[46:47]
	v_add_nc_u64_e32 v[236:237], v[156:157], v[46:47]
	s_wait_dscnt 0x1
	v_max_num_f32_e32 v55, v55, v55
	v_dual_cndmask_b32 v51, v51, v69, s2 :: v_dual_cndmask_b32 v50, v50, v70, s3
	s_wait_dscnt 0x0
	s_delay_alu instid0(VALU_DEP_2) | instskip(NEXT) | instid1(VALU_DEP_2)
	v_dual_max_num_f32 v69, v81, v81 :: v_dual_max_num_f32 v52, v52, v55
	v_dual_cndmask_b32 v51, v51, v71, s3 :: v_dual_cndmask_b32 v50, v50, v72, s4
	s_delay_alu instid0(VALU_DEP_2) | instskip(SKIP_4) | instid1(VALU_DEP_1)
	v_max_num_f32_e32 v54, v54, v69
	ds_bpermute_b32 v55, v68, v52
	v_dual_cndmask_b32 v51, v51, v73, s4 :: v_dual_cndmask_b32 v50, v50, v74, s5
	ds_bpermute_b32 v68, v68, v54
	v_dual_cndmask_b32 v51, v51, v75, s5 :: v_dual_cndmask_b32 v50, v50, v76, s6
	v_dual_cndmask_b32 v51, v51, v77, s6 :: v_dual_cndmask_b32 v50, v50, v78, s7
	s_delay_alu instid0(VALU_DEP_1) | instskip(SKIP_2) | instid1(VALU_DEP_2)
	v_dual_cndmask_b32 v51, v51, v79, s7 :: v_dual_cndmask_b32 v50, v50, v80, s8
	s_wait_dscnt 0x1
	v_max_num_f32_e32 v55, v55, v55
	v_dual_cndmask_b32 v51, v51, v56, s8 :: v_dual_cndmask_b32 v50, v50, v57, s9
	s_wait_dscnt 0x0
	v_max_num_f32_e32 v56, v68, v68
	s_delay_alu instid0(VALU_DEP_2) | instskip(NEXT) | instid1(VALU_DEP_2)
	v_dual_max_num_f32 v52, v52, v55 :: v_dual_cndmask_b32 v51, v51, v53, s9
	v_max_num_f32_e32 v53, v54, v56
	s_delay_alu instid0(VALU_DEP_1) | instskip(NEXT) | instid1(VALU_DEP_1)
	v_dual_sub_f32 v50, v50, v52 :: v_dual_sub_f32 v51, v51, v53
	v_dual_sub_f32 v54, v67, v52 :: v_dual_mul_f32 v55, 0x3fb8aa3b, v50
	v_cmp_ngt_f32_e32 vcc_lo, 0xc2ce8ed0, v50
	s_delay_alu instid0(VALU_DEP_3) | instskip(NEXT) | instid1(VALU_DEP_3)
	v_dual_mul_f32 v56, 0x3fb8aa3b, v51 :: v_dual_sub_f32 v9, v9, v53
	v_fma_f32 v67, 0x3fb8aa3b, v50, -v55
	v_rndne_f32_e32 v68, v55
	s_delay_alu instid0(VALU_DEP_3) | instskip(SKIP_1) | instid1(VALU_DEP_4)
	v_fma_f32 v69, 0x3fb8aa3b, v51, -v56
	v_rndne_f32_e32 v70, v56
	v_fmac_f32_e32 v67, 0x32a5705f, v50
	s_delay_alu instid0(VALU_DEP_4) | instskip(NEXT) | instid1(VALU_DEP_3)
	v_sub_f32_e32 v55, v55, v68
	v_dual_fmac_f32 v69, 0x32a5705f, v51 :: v_dual_sub_f32 v56, v56, v70
	s_delay_alu instid0(VALU_DEP_1) | instskip(NEXT) | instid1(VALU_DEP_1)
	v_dual_mul_f32 v57, 0x3fb8aa3b, v54 :: v_dual_add_f32 v56, v56, v69
	v_rndne_f32_e32 v72, v57
	s_delay_alu instid0(VALU_DEP_4)
	v_add_f32_e32 v55, v55, v67
	v_fma_f32 v71, 0x3fb8aa3b, v54, -v57
	v_cvt_i32_f32_e32 v67, v68
	v_exp_f32_e32 v56, v56
	v_sub_f32_e32 v57, v57, v72
	v_exp_f32_e32 v55, v55
	v_cvt_i32_f32_e32 v68, v70
	v_fmac_f32_e32 v71, 0x32a5705f, v54
	s_delay_alu instid0(TRANS32_DEP_2) | instid1(VALU_DEP_2)
	v_ldexp_f32 v56, v56, v68
	s_delay_alu instid0(TRANS32_DEP_1) | instskip(NEXT) | instid1(VALU_DEP_3)
	v_ldexp_f32 v55, v55, v67
	v_add_f32_e32 v57, v57, v71
	v_cvt_i32_f32_e32 v67, v72
	s_delay_alu instid0(VALU_DEP_3) | instskip(SKIP_1) | instid1(VALU_DEP_4)
	v_cndmask_b32_e32 v55, 0, v55, vcc_lo
	v_cmp_ngt_f32_e32 vcc_lo, 0xc2ce8ed0, v51
	v_exp_f32_e32 v57, v57
	v_cndmask_b32_e32 v56, 0, v56, vcc_lo
	v_cmp_nlt_f32_e32 vcc_lo, 0x42b17218, v50
	s_delay_alu instid0(TRANS32_DEP_1) | instskip(SKIP_4) | instid1(VALU_DEP_4)
	v_ldexp_f32 v57, v57, v67
	v_cndmask_b32_e32 v50, 0x7f800000, v55, vcc_lo
	v_cmp_nlt_f32_e32 vcc_lo, 0x42b17218, v51
	v_cndmask_b32_e32 v51, 0x7f800000, v56, vcc_lo
	v_cmp_ngt_f32_e32 vcc_lo, 0xc2ce8ed0, v54
	v_cvt_f16_f32_e32 v56, v50
	v_cndmask_b32_e32 v55, 0, v57, vcc_lo
	v_cmp_nlt_f32_e32 vcc_lo, 0x42b17218, v54
	v_cvt_f16_f32_e32 v57, v51
	ds_store_b16 v59, v56
	ds_store_b16 v59, v57 offset:256
	v_cndmask_b32_e32 v80, 0x7f800000, v55, vcc_lo
	v_add_nc_u64_e32 v[54:55], s[28:29], v[32:33]
	ds_load_u16 v67, v65
	v_cmp_ngt_f32_e32 vcc_lo, 0xc2ce8ed0, v9
	v_cvt_f16_f32_e32 v56, v80
	v_add_nc_u64_e32 v[192:193], v[54:55], v[46:47]
	s_delay_alu instid0(VALU_DEP_2)
	v_and_b32_e32 v68, 0xffff, v56
	global_load_b128 v[54:57], v[184:185], off offset:128
	ds_load_u16 v82, v66 offset:16
	ds_load_u16 v115, v66 offset:24
	;; [unrolled: 1-line block ×5, first 2 shown]
	v_mul_u32_u24_e32 v81, 0x10001, v68
	s_wait_dscnt 0x5
	v_mul_u32_u24_e32 v67, 0x10001, v67
	s_wait_dscnt 0x4
	;; [unrolled: 2-line block ×5, first 2 shown]
	v_mul_u32_u24_e32 v226, 0x10001, v144
	s_wait_loadcnt 0x3
	v_pk_mul_f16 v68, v116, v81
	v_pk_mul_f16 v69, v117, v81
	;; [unrolled: 1-line block ×4, first 2 shown]
	s_clause 0x1
	scratch_store_b128 off, v[68:71], off offset:16
	scratch_load_b128 v[68:71], off, off offset:16
	global_load_b128 v[116:119], v[192:193], off
	s_wait_loadcnt 0x4
	v_pk_mul_f16 v72, v120, v81
	v_pk_mul_f16 v73, v121, v81
	;; [unrolled: 1-line block ×4, first 2 shown]
	s_wait_loadcnt 0x3
	v_pk_fma_f16 v76, v0, v67, v72
	v_pk_fma_f16 v77, v1, v67, v73
	;; [unrolled: 1-line block ×4, first 2 shown]
	s_clause 0x1
	scratch_store_b128 off, v[72:75], off
	scratch_store_b128 off, v[76:79], off
	ds_load_u16 v120, v66 offset:8
	s_wait_xcnt 0x0
	v_add_nc_u64_e32 v[76:77], s[28:29], v[34:35]
	scratch_load_b128 v[72:75], off, off
	v_add_nc_u64_e32 v[200:201], v[76:77], v[46:47]
	global_load_b128 v[76:79], v[192:193], off offset:128
	s_wait_dscnt 0x0
	v_mul_u32_u24_e32 v202, 0x10001, v120
	s_wait_loadcnt 0x3
	v_pk_fma_f16 v68, v54, v67, v68
	v_pk_fma_f16 v69, v55, v67, v69
	;; [unrolled: 1-line block ×4, first 2 shown]
	s_clause 0x1
	scratch_store_b128 off, v[68:71], off offset:16
	scratch_load_b128 v[68:71], off, off offset:16
	s_clause 0x1
	global_load_b128 v[120:123], v[200:201], off
	global_load_b128 v[124:127], v[200:201], off offset:128
	s_wait_loadcnt 0x4
	v_pk_fma_f16 v72, v116, v202, v72
	v_pk_fma_f16 v73, v117, v202, v73
	v_pk_fma_f16 v74, v118, v202, v74
	v_pk_fma_f16 v75, v119, v202, v75
	s_wait_loadcnt 0x2
	v_pk_fma_f16 v68, v76, v202, v68
	v_pk_fma_f16 v69, v77, v202, v69
	v_pk_fma_f16 v70, v78, v202, v70
	v_pk_fma_f16 v71, v79, v202, v71
	s_clause 0x3
	scratch_store_b128 off, v[72:75], off
	scratch_load_b128 v[72:75], off, off
	scratch_store_b128 off, v[68:71], off offset:16
	scratch_load_b128 v[68:71], off, off offset:16
	s_clause 0x1
	global_load_b128 v[128:131], v[208:209], off
	global_load_b128 v[132:135], v[208:209], off offset:128
	s_wait_loadcnt 0x3
	v_pk_fma_f16 v72, v120, v82, v72
	v_pk_fma_f16 v73, v121, v82, v73
	v_pk_fma_f16 v74, v122, v82, v74
	v_pk_fma_f16 v75, v123, v82, v75
	s_wait_loadcnt 0x2
	v_pk_fma_f16 v68, v124, v82, v68
	v_pk_fma_f16 v69, v125, v82, v69
	v_pk_fma_f16 v70, v126, v82, v70
	v_pk_fma_f16 v71, v127, v82, v71
	s_clause 0x3
	scratch_store_b128 off, v[72:75], off
	scratch_load_b128 v[72:75], off, off
	;; [unrolled: 18-line block ×4, first 2 shown]
	scratch_store_b128 off, v[68:71], off offset:16
	scratch_load_b128 v[68:71], off, off offset:16
	global_load_b128 v[152:155], v[232:233], off
	ds_load_u16 v160, v66 offset:48
	global_load_b128 v[156:159], v[232:233], off offset:128
	s_wait_dscnt 0x0
	v_mul_u32_u24_e32 v238, 0x10001, v160
	s_wait_loadcnt 0x3
	v_pk_fma_f16 v72, v144, v234, v72
	v_pk_fma_f16 v73, v145, v234, v73
	v_pk_fma_f16 v74, v146, v234, v74
	v_pk_fma_f16 v75, v147, v234, v75
	s_wait_loadcnt 0x2
	v_pk_fma_f16 v68, v148, v234, v68
	v_pk_fma_f16 v69, v149, v234, v69
	v_pk_fma_f16 v70, v150, v234, v70
	v_pk_fma_f16 v71, v151, v234, v71
	s_clause 0x1
	scratch_store_b128 off, v[72:75], off
	scratch_load_b128 v[72:75], off, off
	ds_load_u16 v47, v66 offset:272
	ds_load_u16 v249, v66 offset:280
	;; [unrolled: 1-line block ×6, first 2 shown]
	s_clause 0x1
	scratch_store_b128 off, v[68:71], off offset:16
	scratch_load_b128 v[68:71], off, off offset:16
	global_load_b128 v[160:163], v[236:237], off
	s_wait_dscnt 0x0
	v_mul_u32_u24_e32 v244, 0x10001, v172
	s_wait_loadcnt 0x2
	v_pk_fma_f16 v72, v152, v238, v72
	v_pk_fma_f16 v73, v153, v238, v73
	;; [unrolled: 1-line block ×4, first 2 shown]
	s_wait_loadcnt 0x1
	v_pk_fma_f16 v68, v156, v238, v68
	v_pk_fma_f16 v69, v157, v238, v69
	v_pk_fma_f16 v70, v158, v238, v70
	v_pk_fma_f16 v71, v159, v238, v71
	s_clause 0x2
	scratch_store_b128 off, v[72:75], off
	scratch_load_b128 v[72:75], off, off
	scratch_load_b128 v[164:167], off, off offset:32
	global_load_b128 v[168:171], v[236:237], off offset:128
	s_clause 0x2
	scratch_store_b128 off, v[68:71], off offset:16
	scratch_load_b128 v[68:71], off, off offset:16
	scratch_load_b128 v[172:175], off, off offset:48
	s_wait_loadcnt 0x4
	v_pk_fma_f16 v72, v160, v244, v72
	s_wait_loadcnt 0x3
	v_pk_mul_f16 v164, v164, v81
	v_pk_mul_f16 v165, v165, v81
	;; [unrolled: 1-line block ×4, first 2 shown]
	v_pk_fma_f16 v73, v161, v244, v73
	s_wait_loadcnt 0x0
	v_pk_mul_f16 v172, v172, v81
	v_pk_mul_f16 v173, v173, v81
	;; [unrolled: 1-line block ×3, first 2 shown]
	s_clause 0x1
	scratch_store_b128 off, v[164:167], off offset:32
	scratch_load_b128 v[164:167], off, off offset:32
	s_clause 0x1
	global_load_b128 v[176:179], v[184:185], off offset:256
	global_load_b128 v[180:183], v[184:185], off offset:384
	v_pk_mul_f16 v175, v175, v81
	v_pk_fma_f16 v74, v162, v244, v74
	v_pk_fma_f16 v75, v163, v244, v75
	;; [unrolled: 1-line block ×6, first 2 shown]
	s_wait_loadcnt 0x1
	v_pk_fma_f16 v164, v176, v67, v164
	v_pk_fma_f16 v165, v177, v67, v165
	v_pk_fma_f16 v166, v178, v67, v166
	v_pk_fma_f16 v167, v179, v67, v167
	s_clause 0x3
	scratch_store_b128 off, v[172:175], off offset:48
	scratch_load_b128 v[172:175], off, off offset:48
	scratch_store_b128 off, v[164:167], off offset:32
	scratch_load_b128 v[164:167], off, off offset:32
	s_clause 0x1
	global_load_b128 v[184:187], v[192:193], off offset:256
	global_load_b128 v[188:191], v[192:193], off offset:384
	s_wait_loadcnt 0x3
	v_pk_fma_f16 v172, v180, v67, v172
	v_pk_fma_f16 v173, v181, v67, v173
	;; [unrolled: 1-line block ×4, first 2 shown]
	s_wait_loadcnt 0x1
	v_pk_fma_f16 v164, v184, v202, v164
	v_pk_fma_f16 v165, v185, v202, v165
	;; [unrolled: 1-line block ×4, first 2 shown]
	s_clause 0x1
	scratch_store_b128 off, v[172:175], off offset:48
	scratch_load_b128 v[172:175], off, off offset:48
	v_mul_f32_e32 v67, 0x3fb8aa3b, v9
	s_clause 0x1
	scratch_store_b128 off, v[164:167], off offset:32
	scratch_load_b128 v[164:167], off, off offset:32
	s_clause 0x1
	global_load_b128 v[192:195], v[200:201], off offset:256
	global_load_b128 v[196:199], v[200:201], off offset:384
	v_fma_f32 v81, 0x3fb8aa3b, v9, -v67
	s_delay_alu instid0(VALU_DEP_1)
	v_fmac_f32_e32 v81, 0x32a5705f, v9
	s_wait_loadcnt 0x3
	v_pk_fma_f16 v172, v188, v202, v172
	v_pk_fma_f16 v173, v189, v202, v173
	;; [unrolled: 1-line block ×4, first 2 shown]
	s_wait_loadcnt 0x1
	v_pk_fma_f16 v164, v192, v82, v164
	v_pk_fma_f16 v165, v193, v82, v165
	;; [unrolled: 1-line block ×4, first 2 shown]
	s_clause 0x3
	scratch_store_b128 off, v[172:175], off offset:48
	scratch_load_b128 v[172:175], off, off offset:48
	scratch_store_b128 off, v[164:167], off offset:32
	scratch_load_b128 v[164:167], off, off offset:32
	s_clause 0x1
	global_load_b128 v[200:203], v[208:209], off offset:256
	global_load_b128 v[204:207], v[208:209], off offset:384
	s_wait_loadcnt 0x3
	v_pk_fma_f16 v172, v196, v82, v172
	v_pk_fma_f16 v173, v197, v82, v173
	v_pk_fma_f16 v174, v198, v82, v174
	v_pk_fma_f16 v175, v199, v82, v175
	s_wait_loadcnt 0x1
	v_pk_fma_f16 v164, v200, v115, v164
	v_pk_fma_f16 v165, v201, v115, v165
	;; [unrolled: 1-line block ×4, first 2 shown]
	s_clause 0x1
	scratch_store_b128 off, v[172:175], off offset:48
	scratch_load_b128 v[172:175], off, off offset:48
	v_rndne_f32_e32 v82, v67
	s_clause 0x1
	scratch_store_b128 off, v[164:167], off offset:32
	scratch_load_b128 v[164:167], off, off offset:32
	s_clause 0x1
	global_load_b128 v[208:211], v[216:217], off offset:256
	global_load_b128 v[212:215], v[216:217], off offset:384
	v_sub_f32_e32 v67, v67, v82
	s_delay_alu instid0(VALU_DEP_1) | instskip(SKIP_1) | instid1(VALU_DEP_2)
	v_add_f32_e32 v67, v67, v81
	v_cvt_i32_f32_e32 v81, v82
	v_exp_f32_e32 v67, v67
	v_nop
	s_delay_alu instid0(TRANS32_DEP_1) | instskip(NEXT) | instid1(VALU_DEP_1)
	v_ldexp_f32 v67, v67, v81
	v_cndmask_b32_e32 v67, 0, v67, vcc_lo
	v_cmp_nlt_f32_e32 vcc_lo, 0x42b17218, v9
	s_delay_alu instid0(VALU_DEP_2) | instskip(NEXT) | instid1(VALU_DEP_1)
	v_cndmask_b32_e32 v81, 0x7f800000, v67, vcc_lo
	v_cvt_f16_f32_e32 v9, v81
	v_pk_fma_f32 v[4:5], v[4:5], v[80:81], v[50:51]
	s_delay_alu instid0(VALU_DEP_2) | instskip(NEXT) | instid1(VALU_DEP_1)
	v_and_b32_e32 v9, 0xffff, v9
	v_mul_u32_u24_e32 v9, 0x10001, v9
	s_wait_loadcnt 0x3
	v_pk_fma_f16 v172, v204, v115, v172
	v_pk_fma_f16 v173, v205, v115, v173
	;; [unrolled: 1-line block ×4, first 2 shown]
	s_wait_loadcnt 0x1
	v_pk_fma_f16 v164, v208, v226, v164
	v_pk_fma_f16 v165, v209, v226, v165
	;; [unrolled: 1-line block ×4, first 2 shown]
	s_clause 0x3
	scratch_store_b128 off, v[172:175], off offset:48
	scratch_load_b128 v[172:175], off, off offset:48
	scratch_store_b128 off, v[164:167], off offset:32
	scratch_load_b128 v[164:167], off, off offset:32
	s_clause 0x1
	global_load_b128 v[216:219], v[224:225], off offset:256
	global_load_b128 v[220:223], v[224:225], off offset:384
	s_wait_loadcnt 0x3
	v_pk_fma_f16 v172, v212, v226, v172
	v_pk_fma_f16 v173, v213, v226, v173
	;; [unrolled: 1-line block ×4, first 2 shown]
	s_wait_loadcnt 0x1
	v_pk_fma_f16 v164, v216, v234, v164
	v_pk_fma_f16 v165, v217, v234, v165
	;; [unrolled: 1-line block ×4, first 2 shown]
	s_clause 0x3
	scratch_store_b128 off, v[172:175], off offset:48
	scratch_load_b128 v[172:175], off, off offset:48
	scratch_store_b128 off, v[164:167], off offset:32
	scratch_load_b128 v[164:167], off, off offset:32
	s_clause 0x1
	global_load_b128 v[224:227], v[232:233], off offset:256
	global_load_b128 v[228:231], v[232:233], off offset:384
	s_wait_loadcnt 0x3
	v_pk_fma_f16 v172, v220, v234, v172
	v_pk_fma_f16 v173, v221, v234, v173
	;; [unrolled: 1-line block ×4, first 2 shown]
	s_wait_loadcnt 0x1
	v_pk_fma_f16 v164, v224, v238, v164
	v_pk_fma_f16 v165, v225, v238, v165
	;; [unrolled: 1-line block ×4, first 2 shown]
	s_clause 0x1
	scratch_store_b128 off, v[172:175], off offset:48
	scratch_load_b128 v[172:175], off, off offset:48
	global_load_b128 v[232:235], v[236:237], off offset:256
	scratch_load_b128 v[240:243], off, off offset:64
	s_wait_loadcnt 0x2
	v_pk_fma_f16 v172, v228, v238, v172
	v_pk_fma_f16 v173, v229, v238, v173
	s_wait_loadcnt 0x0
	v_pk_mul_f16 v82, v241, v9
	ds_load_u16 v241, v65 offset:256
	v_pk_mul_f16 v67, v240, v9
	v_pk_mul_f16 v115, v242, v9
	;; [unrolled: 1-line block ×3, first 2 shown]
	v_pk_fma_f16 v174, v230, v238, v174
	v_pk_fma_f16 v175, v231, v238, v175
	s_clause 0x1
	scratch_store_b128 off, v[164:167], off offset:32
	scratch_load_b128 v[164:167], off, off offset:32
	global_load_b128 v[236:239], v[236:237], off offset:384
	s_clause 0x1
	scratch_store_b128 off, v[172:175], off offset:48
	scratch_load_b128 v[172:175], off, off offset:48
	s_wait_dscnt 0x0
	v_mul_u32_u24_e32 v253, 0x10001, v241
	s_delay_alu instid0(VALU_DEP_1)
	v_pk_fma_f16 v0, v0, v253, v67
	v_pk_fma_f16 v1, v1, v253, v82
	;; [unrolled: 1-line block ×4, first 2 shown]
	ds_load_u16 v67, v66 offset:264
	v_mul_u32_u24_e32 v82, 0x10001, v248
	v_mul_u32_u24_e32 v115, 0x10001, v250
	s_clause 0x1
	scratch_store_b128 off, v[0:3], off offset:64
	scratch_load_b128 v[0:3], off, off offset:64
	s_wait_dscnt 0x0
	v_mul_u32_u24_e32 v67, 0x10001, v67
	s_wait_loadcnt 0x3
	v_pk_fma_f16 v164, v232, v244, v164
	v_pk_fma_f16 v165, v233, v244, v165
	v_pk_fma_f16 v166, v234, v244, v166
	v_pk_fma_f16 v167, v235, v244, v167
	s_wait_loadcnt 0x1
	v_pk_fma_f16 v172, v236, v244, v172
	v_pk_fma_f16 v173, v237, v244, v173
	v_pk_fma_f16 v174, v238, v244, v174
	v_pk_fma_f16 v175, v239, v244, v175
	;; [unrolled: 5-line block ×3, first 2 shown]
	s_clause 0x2
	scratch_load_b128 v[116:119], off, off offset:96
	scratch_load_b128 v[240:243], off, off offset:112
	;; [unrolled: 1-line block ×3, first 2 shown]
	s_wait_loadcnt 0x2
	v_pk_mul_f16 v116, v116, v9
	v_pk_mul_f16 v117, v117, v9
	;; [unrolled: 1-line block ×4, first 2 shown]
	s_wait_loadcnt 0x0
	v_pk_mul_f16 v244, v244, v9
	v_pk_mul_f16 v245, v245, v9
	;; [unrolled: 1-line block ×8, first 2 shown]
	s_clause 0x4
	scratch_store_b128 off, v[116:119], off offset:96
	scratch_store_b128 off, v[240:243], off offset:112
	;; [unrolled: 1-line block ×3, first 2 shown]
	scratch_load_b128 v[116:119], off, off offset:88
	scratch_load_b128 v[240:243], off, off offset:104
	v_pk_fma_f16 v54, v54, v253, v244
	v_pk_fma_f16 v55, v55, v253, v245
	v_mul_u32_u24_e32 v9, 0x10001, v47
	v_mul_u32_u24_e32 v47, 0x10001, v249
	s_clause 0x1
	scratch_store_b128 off, v[0:3], off offset:64
	scratch_load_b128 v[0:3], off, off offset:64
	s_wait_loadcnt 0x2
	v_pk_fma_f16 v56, v56, v253, v116
	v_pk_fma_f16 v57, v57, v253, v117
	;; [unrolled: 1-line block ×4, first 2 shown]
	s_wait_loadcnt 0x1
	v_pk_fma_f16 v118, v178, v253, v240
	v_pk_fma_f16 v119, v179, v253, v241
	s_clause 0x1
	scratch_store_b128 off, v[54:57], off offset:80
	scratch_load_b128 v[54:57], off, off offset:80
	s_wait_loadcnt 0x1
	v_pk_fma_f16 v0, v120, v9, v0
	v_pk_fma_f16 v1, v121, v9, v1
	;; [unrolled: 1-line block ×4, first 2 shown]
	v_mul_u32_u24_e32 v122, 0x10001, v251
	v_mul_u32_u24_e32 v123, 0x10001, v252
	s_clause 0x1
	scratch_store_b128 off, v[0:3], off offset:64
	scratch_load_b128 v[0:3], off, off offset:64
	s_wait_loadcnt 0x1
	v_pk_fma_f16 v54, v76, v67, v54
	v_pk_fma_f16 v55, v77, v67, v55
	v_pk_fma_f16 v56, v78, v67, v56
	v_pk_fma_f16 v57, v79, v67, v57
	s_clause 0x1
	scratch_store_b128 off, v[54:57], off offset:80
	scratch_load_b128 v[54:57], off, off offset:80
	s_wait_loadcnt 0x1
	v_pk_fma_f16 v0, v128, v47, v0
	v_pk_fma_f16 v1, v129, v47, v1
	v_pk_fma_f16 v2, v130, v47, v2
	v_pk_fma_f16 v3, v131, v47, v3
	;; [unrolled: 8-line block ×8, first 2 shown]
	scratch_store_b128 off, v[0:3], off offset:64
	s_wait_loadcnt 0x0
	v_pk_fma_f16 v54, v148, v115, v54
	v_pk_fma_f16 v55, v149, v115, v55
	v_pk_fma_f16 v56, v150, v115, v56
	v_pk_fma_f16 v57, v151, v115, v57
	s_clause 0x3
	scratch_store_b128 off, v[54:57], off offset:80
	scratch_load_b128 v[54:57], off, off offset:80
	scratch_load_b128 v[0:3], off, off offset:64
	scratch_load_b64 v[120:121], off, off offset:120
	s_load_b32 s24, s[10:11], 0x4
	s_wait_kmcnt 0x0
	s_lshl_b32 s38, s24, 7
	s_delay_alu instid0(SALU_CYCLE_1)
	s_mul_i32 s24, s38, s26
	s_add_co_i32 s44, s38, s44
	s_lshl_b64 s[46:47], s[38:39], 1
	s_add_nc_u64 s[30:31], s[30:31], s[24:25]
	s_mul_i32 s24, s38, s22
	s_cmp_ge_i32 s44, s43
	s_add_nc_u64 s[20:21], s[20:21], s[46:47]
	s_add_nc_u64 s[28:29], s[28:29], s[24:25]
	s_wait_loadcnt 0x1
	v_pk_fma_f16 v0, v160, v123, v0
	v_pk_fma_f16 v54, v156, v122, v54
	;; [unrolled: 1-line block ×5, first 2 shown]
	s_clause 0x1
	scratch_store_b128 off, v[116:119], off offset:96
	scratch_load_b128 v[76:79], off, off offset:96
	s_wait_loadcnt 0x1
	s_wait_xcnt 0x1
	v_pk_fma_f16 v118, v182, v253, v120
	v_pk_fma_f16 v119, v183, v253, v121
	v_pk_fma_f16 v116, v180, v253, v242
	v_pk_fma_f16 v117, v181, v253, v243
	s_clause 0x1
	scratch_store_b128 off, v[54:57], off offset:80
	scratch_load_b128 v[54:57], off, off offset:80
	v_pk_fma_f16 v1, v161, v123, v1
	v_pk_fma_f16 v2, v162, v123, v2
	;; [unrolled: 1-line block ×3, first 2 shown]
	s_wait_loadcnt 0x1
	v_pk_fma_f16 v76, v184, v67, v76
	v_pk_fma_f16 v77, v185, v67, v77
	;; [unrolled: 1-line block ×4, first 2 shown]
	s_clause 0x1
	scratch_store_b128 off, v[116:119], off offset:112
	scratch_load_b128 v[116:119], off, off offset:112
	s_wait_loadcnt 0x1
	v_pk_fma_f16 v54, v168, v123, v54
	v_pk_fma_f16 v55, v169, v123, v55
	s_clause 0x1
	scratch_store_b128 off, v[76:79], off offset:96
	scratch_load_b128 v[76:79], off, off offset:96
	v_pk_fma_f16 v56, v170, v123, v56
	v_pk_fma_f16 v57, v171, v123, v57
	s_wait_loadcnt 0x1
	v_pk_fma_f16 v116, v188, v67, v116
	v_pk_fma_f16 v117, v189, v67, v117
	v_pk_fma_f16 v118, v190, v67, v118
	v_pk_fma_f16 v119, v191, v67, v119
	s_wait_loadcnt 0x0
	v_pk_fma_f16 v76, v192, v9, v76
	v_pk_fma_f16 v77, v193, v9, v77
	v_pk_fma_f16 v78, v194, v9, v78
	v_pk_fma_f16 v79, v195, v9, v79
	s_clause 0x3
	scratch_store_b128 off, v[116:119], off offset:112
	scratch_load_b128 v[116:119], off, off offset:112
	scratch_store_b128 off, v[76:79], off offset:96
	scratch_load_b128 v[76:79], off, off offset:96
	s_wait_loadcnt 0x1
	v_pk_fma_f16 v116, v196, v9, v116
	v_pk_fma_f16 v117, v197, v9, v117
	v_pk_fma_f16 v118, v198, v9, v118
	v_pk_fma_f16 v119, v199, v9, v119
	s_wait_loadcnt 0x0
	v_pk_fma_f16 v76, v200, v47, v76
	v_pk_fma_f16 v77, v201, v47, v77
	v_pk_fma_f16 v78, v202, v47, v78
	v_pk_fma_f16 v79, v203, v47, v79
	s_clause 0x3
	scratch_store_b128 off, v[116:119], off offset:112
	scratch_load_b128 v[116:119], off, off offset:112
	scratch_store_b128 off, v[76:79], off offset:96
	scratch_load_b128 v[76:79], off, off offset:96
	;; [unrolled: 15-line block ×5, first 2 shown]
	s_wait_loadcnt 0x1
	v_pk_fma_f16 v116, v228, v122, v116
	v_pk_fma_f16 v117, v229, v122, v117
	;; [unrolled: 1-line block ×4, first 2 shown]
	s_wait_loadcnt 0x0
	v_pk_fma_f16 v76, v232, v123, v76
	v_pk_fma_f16 v77, v233, v123, v77
	;; [unrolled: 1-line block ×4, first 2 shown]
	s_clause 0x3
	scratch_store_b128 off, v[116:119], off offset:112
	scratch_load_b128 v[116:119], off, off offset:112
	scratch_store_b128 off, v[72:75], off
	scratch_store_b128 off, v[0:3], off offset:64
	s_wait_loadcnt 0x0
	v_pk_fma_f16 v0, v236, v123, v116
	v_pk_fma_f16 v1, v237, v123, v117
	;; [unrolled: 1-line block ×4, first 2 shown]
	s_clause 0x5
	scratch_store_b128 off, v[68:71], off offset:16
	scratch_store_b128 off, v[164:167], off offset:32
	;; [unrolled: 1-line block ×6, first 2 shown]
	s_cbranch_scc1 .LBB28_58
; %bb.56:                               ;   in Loop: Header=BB28_23 Depth=1
	v_dual_mov_b32 v67, v52 :: v_dual_mov_b32 v9, v53
	s_branch .LBB28_23
.LBB28_57:
	v_mov_b64_e32 v[52:53], 0xfefffffffeffffff
	v_mov_b64_e32 v[4:5], 0
.LBB28_58:
	s_cmp_lg_u64 s[12:13], 0
	v_cmp_gt_u32_e32 vcc_lo, 2, v62
	s_cselect_b32 s2, -1, 0
	s_cmp_eq_u32 s41, 0
	s_cselect_b32 s3, -1, 0
	s_delay_alu instid0(SALU_CYCLE_1) | instskip(NEXT) | instid1(SALU_CYCLE_1)
	s_and_b32 s2, s3, s2
	s_and_b32 s2, s2, vcc_lo
	s_wait_xcnt 0x0
	s_and_saveexec_b32 s3, s2
	s_cbranch_execz .LBB28_60
; %bb.59:
	v_dual_mov_b32 v0, s33 :: v_dual_lshlrev_b32 v21, 6, v62
	v_cmp_eq_u32_e32 vcc_lo, 1, v62
	global_load_b32 v20, v0, s[12:13] scale_offset
	s_clause 0x3
	scratch_load_b128 v[0:3], v21, off
	scratch_load_b128 v[8:11], v21, off offset:16
	scratch_load_b128 v[12:15], v21, off offset:32
	;; [unrolled: 1-line block ×3, first 2 shown]
	v_cndmask_b32_e32 v22, v52, v53, vcc_lo
	s_wait_loadcnt 0x4
	s_delay_alu instid0(VALU_DEP_1) | instskip(NEXT) | instid1(VALU_DEP_1)
	v_dual_max_num_f32 v23, v22, v22 :: v_dual_max_num_f32 v24, v20, v20
	v_max_num_f32_e32 v23, v24, v23
	s_delay_alu instid0(VALU_DEP_1) | instskip(NEXT) | instid1(VALU_DEP_1)
	v_sub_f32_e32 v20, v20, v23
	v_mul_f32_e32 v25, 0x3fb8aa3b, v20
	s_delay_alu instid0(VALU_DEP_1) | instskip(SKIP_2) | instid1(VALU_DEP_2)
	v_rndne_f32_e32 v29, v25
	v_sub_f32_e32 v22, v22, v23
	v_fma_f32 v28, 0x3fb8aa3b, v20, -v25
	v_dual_sub_f32 v25, v25, v29 :: v_dual_mul_f32 v24, 0x3fb8aa3b, v22
	s_delay_alu instid0(VALU_DEP_2) | instskip(SKIP_1) | instid1(VALU_DEP_3)
	v_dual_fmac_f32 v28, 0x32a5705f, v20 :: v_dual_cndmask_b32 v53, v53, v23
	v_cmp_ngt_f32_e64 s2, 0xc2ce8ed0, v22
	v_fma_f32 v26, 0x3fb8aa3b, v22, -v24
	v_rndne_f32_e32 v27, v24
	s_delay_alu instid0(VALU_DEP_2) | instskip(NEXT) | instid1(VALU_DEP_2)
	v_dual_add_f32 v25, v25, v28 :: v_dual_fmac_f32 v26, 0x32a5705f, v22
	v_sub_f32_e32 v24, v24, v27
	s_delay_alu instid0(VALU_DEP_2) | instskip(NEXT) | instid1(VALU_DEP_1)
	v_exp_f32_e32 v25, v25
	v_add_f32_e32 v24, v24, v26
	v_cvt_i32_f32_e32 v26, v27
	v_cvt_i32_f32_e32 v27, v29
	s_delay_alu instid0(VALU_DEP_3)
	v_exp_f32_e32 v24, v24
	s_delay_alu instid0(TRANS32_DEP_2) | instid1(VALU_DEP_1)
	v_ldexp_f32 v25, v25, v27
	s_delay_alu instid0(TRANS32_DEP_1) | instskip(NEXT) | instid1(VALU_DEP_1)
	v_ldexp_f32 v24, v24, v26
	v_cndmask_b32_e64 v24, 0, v24, s2
	v_cmp_ngt_f32_e64 s2, 0xc2ce8ed0, v20
	s_delay_alu instid0(VALU_DEP_1) | instskip(SKIP_1) | instid1(VALU_DEP_1)
	v_cndmask_b32_e64 v25, 0, v25, s2
	v_cmp_nlt_f32_e64 s2, 0x42b17218, v22
	v_cndmask_b32_e64 v22, 0x7f800000, v24, s2
	v_cmp_nlt_f32_e64 s2, 0x42b17218, v20
	s_delay_alu instid0(VALU_DEP_2) | instskip(NEXT) | instid1(VALU_DEP_2)
	v_cvt_f16_f32_e32 v24, v22
	v_cndmask_b32_e64 v20, 0x7f800000, v25, s2
	v_cmp_eq_u32_e64 s2, 0, v7
	v_cndmask_b32_e32 v25, v4, v5, vcc_lo
	s_delay_alu instid0(VALU_DEP_4) | instskip(NEXT) | instid1(VALU_DEP_3)
	v_and_b32_e32 v24, 0xffff, v24
	v_cndmask_b32_e64 v20, 0, v20, s2
	v_cmp_eq_u32_e64 s2, 0, v62
	s_delay_alu instid0(VALU_DEP_2) | instskip(NEXT) | instid1(VALU_DEP_4)
	v_fmac_f32_e32 v20, v25, v22
	v_mul_u32_u24_e32 v22, 0x10001, v24
	s_delay_alu instid0(VALU_DEP_2) | instskip(SKIP_1) | instid1(VALU_DEP_2)
	v_dual_cndmask_b32 v52, v52, v23, s2 :: v_dual_cndmask_b32 v5, v5, v20, vcc_lo
	s_wait_loadcnt 0x3
	v_pk_mul_f16 v0, v0, v22
	v_pk_mul_f16 v1, v1, v22
	;; [unrolled: 1-line block ×4, first 2 shown]
	v_cndmask_b32_e64 v4, v4, v20, s2
	s_wait_loadcnt 0x2
	v_pk_mul_f16 v8, v8, v22
	v_pk_mul_f16 v9, v9, v22
	v_pk_mul_f16 v10, v10, v22
	v_pk_mul_f16 v11, v11, v22
	s_wait_loadcnt 0x1
	v_pk_mul_f16 v12, v12, v22
	v_pk_mul_f16 v13, v13, v22
	v_pk_mul_f16 v14, v14, v22
	v_pk_mul_f16 v15, v15, v22
	;; [unrolled: 5-line block ×3, first 2 shown]
	s_clause 0x3
	scratch_store_b128 v21, v[0:3], off
	scratch_store_b128 v21, v[8:11], off offset:16
	scratch_store_b128 v21, v[12:15], off offset:32
	;; [unrolled: 1-line block ×3, first 2 shown]
.LBB28_60:
	s_wait_xcnt 0x0
	s_or_b32 exec_lo, exec_lo, s3
	v_add_nc_u32_e32 v3, 0x2100, v61
	v_or_b32_e32 v12, 0x2000, v61
	s_mov_b32 s2, exec_lo
	v_cmpx_eq_u32_e32 0, v62
	s_cbranch_execz .LBB28_62
; %bb.61:
	v_dual_mov_b32 v0, 0xfeffffff :: v_dual_mov_b32 v1, 0
	ds_store_2addr_b32 v12, v0, v0 offset1:32
	ds_store_2addr_b32 v3, v1, v1 offset1:32
.LBB28_62:
	s_or_b32 exec_lo, exec_lo, s2
	v_cmp_eq_u32_e64 s2, 0, v7
	s_wait_storecnt_dscnt 0x0
	s_barrier_signal -1
	s_barrier_wait -1
	s_and_saveexec_b32 s3, s2
; %bb.63:
	v_lshlrev_b32_e32 v0, 2, v62
	s_delay_alu instid0(VALU_DEP_1)
	v_add_nc_u32_e32 v0, 0x2000, v0
	ds_store_2addr_b32 v0, v52, v53 offset1:32
; %bb.64:
	s_or_b32 exec_lo, exec_lo, s3
	s_delay_alu instid0(SALU_CYCLE_1)
	s_and_not1_b32 vcc_lo, exec_lo, s42
	s_wait_dscnt 0x0
	s_barrier_signal -1
	s_barrier_wait -1
	s_cbranch_vccnz .LBB28_67
; %bb.65:
	s_add_nc_u64 s[4:5], s[0:1], 0xd0
	s_cbranch_execz .LBB28_68
; %bb.66:
	s_mov_b64 s[14:15], s[4:5]
	s_branch .LBB28_75
.LBB28_67:
                                        ; implicit-def: $sgpr4_sgpr5
.LBB28_68:
	ds_load_b32 v0, v12
	v_xor_b32_e32 v2, 8, v63
	v_xor_b32_e32 v1, 16, v63
	s_clause 0x3
	scratch_load_b128 v[14:17], off, off
	scratch_load_b128 v[18:21], off, off offset:16
	scratch_load_b128 v[22:25], off, off offset:32
	;; [unrolled: 1-line block ×3, first 2 shown]
	v_cmp_gt_i32_e32 vcc_lo, 32, v1
	s_load_b32 s3, s[0:1], 0xd4
	v_cndmask_b32_e32 v1, v63, v1, vcc_lo
	s_delay_alu instid0(VALU_DEP_1) | instskip(SKIP_4) | instid1(VALU_DEP_1)
	v_lshlrev_b32_e32 v10, 2, v1
	s_wait_dscnt 0x0
	ds_bpermute_b32 v1, v10, v0
	s_wait_dscnt 0x0
	v_dual_max_num_f32 v0, v0, v0 :: v_dual_max_num_f32 v1, v1, v1
	v_max_num_f32_e32 v0, v0, v1
	v_cmp_gt_i32_e32 vcc_lo, 32, v2
	v_cndmask_b32_e32 v2, v63, v2, vcc_lo
	s_delay_alu instid0(VALU_DEP_1) | instskip(SKIP_4) | instid1(VALU_DEP_1)
	v_dual_lshlrev_b32 v11, 2, v2 :: v_dual_bitop2_b32 v2, 4, v63 bitop3:0x14
	ds_bpermute_b32 v1, v11, v0
	v_cmp_gt_i32_e32 vcc_lo, 32, v2
	s_wait_dscnt 0x0
	v_dual_cndmask_b32 v2, v63, v2 :: v_dual_max_num_f32 v1, v1, v1
	v_dual_max_num_f32 v0, v0, v1 :: v_dual_lshlrev_b32 v9, 2, v2
	ds_bpermute_b32 v1, v9, v0
	s_wait_dscnt 0x0
	v_dual_max_num_f32 v1, v1, v1 :: v_dual_bitop2_b32 v2, 2, v63 bitop3:0x14
	s_delay_alu instid0(VALU_DEP_1) | instskip(NEXT) | instid1(VALU_DEP_2)
	v_cmp_gt_i32_e32 vcc_lo, 32, v2
	v_dual_max_num_f32 v0, v0, v1 :: v_dual_cndmask_b32 v2, v63, v2, vcc_lo
	s_delay_alu instid0(VALU_DEP_1) | instskip(SKIP_4) | instid1(VALU_DEP_1)
	v_dual_lshlrev_b32 v8, 2, v2 :: v_dual_bitop2_b32 v2, 1, v63 bitop3:0x14
	ds_bpermute_b32 v1, v8, v0
	v_cmp_gt_i32_e32 vcc_lo, 32, v2
	s_wait_dscnt 0x0
	v_dual_cndmask_b32 v2, v63, v2 :: v_dual_max_num_f32 v1, v1, v1
	v_dual_lshlrev_b32 v2, 2, v2 :: v_dual_max_num_f32 v0, v0, v1
	ds_bpermute_b32 v1, v2, v0
	s_wait_dscnt 0x0
	v_max_num_f32_e32 v1, v1, v1
	s_delay_alu instid0(VALU_DEP_1) | instskip(NEXT) | instid1(VALU_DEP_1)
	v_max_num_f32_e32 v0, v0, v1
	v_sub_f32_e32 v1, v52, v0
	s_delay_alu instid0(VALU_DEP_1) | instskip(NEXT) | instid1(VALU_DEP_1)
	v_mul_f32_e32 v13, 0x3fb8aa3b, v1
	v_fma_f32 v30, 0x3fb8aa3b, v1, -v13
	v_rndne_f32_e32 v31, v13
	s_delay_alu instid0(VALU_DEP_1) | instskip(SKIP_1) | instid1(VALU_DEP_4)
	v_sub_f32_e32 v13, v13, v31
	v_cmp_ngt_f32_e32 vcc_lo, 0xc2ce8ed0, v1
	v_fmamk_f32 v30, v1, 0x32a5705f, v30
	s_delay_alu instid0(VALU_DEP_1) | instskip(SKIP_1) | instid1(VALU_DEP_2)
	v_add_f32_e32 v13, v13, v30
	v_cvt_i32_f32_e32 v30, v31
	v_exp_f32_e32 v13, v13
	v_nop
	s_delay_alu instid0(TRANS32_DEP_1) | instskip(NEXT) | instid1(VALU_DEP_1)
	v_ldexp_f32 v13, v13, v30
	v_cndmask_b32_e32 v13, 0, v13, vcc_lo
	v_cmp_nlt_f32_e32 vcc_lo, 0x42b17218, v1
	s_delay_alu instid0(VALU_DEP_2) | instskip(NEXT) | instid1(VALU_DEP_1)
	v_cndmask_b32_e32 v1, 0x7f800000, v13, vcc_lo
	v_mul_f32_e32 v13, v4, v1
	ds_bpermute_b32 v13, v10, v13
	s_wait_dscnt 0x0
	v_fmac_f32_e32 v13, v4, v1
	ds_bpermute_b32 v4, v11, v13
	s_wait_dscnt 0x0
	v_add_f32_e32 v4, v13, v4
	v_cvt_f16_f32_e32 v1, v1
	ds_bpermute_b32 v13, v9, v4
	v_and_b32_e32 v1, 0xffff, v1
	s_delay_alu instid0(VALU_DEP_1)
	v_mul_u32_u24_e32 v32, 0x10001, v1
	s_wait_dscnt 0x0
	v_dual_add_f32 v4, v4, v13 :: v_dual_lshlrev_b32 v13, 6, v7
	ds_bpermute_b32 v30, v8, v4
	v_and_b32_e32 v31, 0x1e00, v13
	v_lshl_add_u32 v13, v62, 2, 0x2100
	s_wait_loadcnt 0x3
	v_pk_mul_f16 v14, v14, v32
	v_pk_mul_f16 v15, v15, v32
	;; [unrolled: 1-line block ×3, first 2 shown]
	v_lshl_add_u32 v31, v62, 11, v31
	v_pk_mul_f16 v17, v17, v32
	s_wait_loadcnt 0x2
	v_pk_mul_f16 v18, v18, v32
	v_pk_mul_f16 v19, v19, v32
	;; [unrolled: 1-line block ×3, first 2 shown]
	v_lshl_or_b32 v6, v6, 2, v31
	v_pk_mul_f16 v21, v21, v32
	s_wait_loadcnt 0x1
	v_pk_mul_f16 v22, v22, v32
	v_pk_mul_f16 v23, v23, v32
	;; [unrolled: 1-line block ×4, first 2 shown]
	s_wait_loadcnt 0x0
	v_pk_mul_f16 v26, v26, v32
	v_pk_mul_f16 v27, v27, v32
	;; [unrolled: 1-line block ×3, first 2 shown]
	s_wait_dscnt 0x0
	v_add_f32_e32 v1, v4, v30
	v_pk_mul_f16 v29, v29, v32
	s_clause 0x3
	scratch_store_b128 off, v[14:17], off
	scratch_store_b128 off, v[18:21], off offset:16
	scratch_store_b128 off, v[22:25], off offset:32
	scratch_store_b128 off, v[26:29], off offset:48
	ds_store_b128 v6, v[14:17]
	ds_store_b128 v6, v[18:21] offset:128
	ds_store_b128 v6, v[22:25] offset:256
	;; [unrolled: 1-line block ×3, first 2 shown]
	ds_bpermute_b32 v4, v2, v1
	s_wait_xcnt 0x0
	s_and_saveexec_b32 s0, s2
	s_cbranch_execz .LBB28_70
; %bb.69:
	s_wait_dscnt 0x0
	v_add_f32_e32 v1, v1, v4
	ds_store_b32 v13, v1
.LBB28_70:
	s_or_b32 exec_lo, exec_lo, s0
	s_wait_storecnt_dscnt 0x0
	s_barrier_signal -1
	s_barrier_wait -1
	ds_load_b32 v1, v3
	ds_load_u16 v4, v59
	ds_load_u16 v14, v59 offset:1280
	ds_load_u16 v15, v59 offset:768
	;; [unrolled: 1-line block ×5, first 2 shown]
	s_wait_kmcnt 0x0
	s_cmp_eq_u32 s3, 1
	s_mul_i32 s1, s36, s34
	s_wait_dscnt 0x6
	ds_bpermute_b32 v17, v10, v1
	s_wait_dscnt 0x6
	v_cvt_f32_f16_e32 v4, v4
	s_wait_dscnt 0x5
	v_cvt_f32_f16_e32 v14, v14
	;; [unrolled: 2-line block ×6, first 2 shown]
	v_add_f32_e32 v4, 0, v4
	s_delay_alu instid0(VALU_DEP_1)
	v_dual_add_f32 v16, 0, v16 :: v_dual_add_f32 v4, v4, v18
	s_wait_dscnt 0x0
	v_add_f32_e32 v1, v1, v17
	ds_load_u16 v17, v59 offset:1536
	ds_load_u16 v21, v59 offset:2048
	;; [unrolled: 1-line block ×9, first 2 shown]
	ds_bpermute_b32 v20, v11, v1
	v_add_f32_e32 v15, v16, v15
	s_wait_dscnt 0x8
	v_cvt_f32_f16_e32 v16, v21
	s_wait_dscnt 0x7
	v_cvt_f32_f16_e32 v22, v22
	;; [unrolled: 2-line block ×3, first 2 shown]
	v_cvt_f32_f16_e32 v17, v17
	s_wait_dscnt 0x3
	v_cvt_f32_f16_e32 v18, v18
	v_cvt_f32_f16_e32 v24, v24
	s_wait_dscnt 0x2
	v_cvt_f32_f16_e32 v26, v26
	s_wait_dscnt 0x0
	v_dual_add_f32 v1, v1, v20 :: v_dual_add_f32 v4, v4, v19
	v_add_f32_e32 v14, v15, v14
	v_cvt_f32_f16_e32 v19, v25
	ds_bpermute_b32 v15, v9, v1
	v_add_f32_e32 v4, v4, v17
	ds_load_u16 v17, v59 offset:4096
	ds_load_u16 v20, v59 offset:4608
	;; [unrolled: 1-line block ×8, first 2 shown]
	v_dual_add_f32 v14, v14, v19 :: v_dual_add_f32 v4, v4, v16
	ds_load_u16 v16, v59 offset:7424
	ds_load_u16 v19, v59 offset:6912
	;; [unrolled: 1-line block ×4, first 2 shown]
	s_wait_dscnt 0xa
	v_cvt_f32_f16_e32 v20, v20
	s_wait_dscnt 0x9
	v_cvt_f32_f16_e32 v21, v21
	v_dual_add_f32 v1, v1, v15 :: v_dual_add_f32 v14, v14, v24
	v_add_f32_e32 v4, v4, v18
	v_cvt_f32_f16_e32 v18, v27
	v_cvt_f32_f16_e32 v15, v17
	s_wait_dscnt 0x5
	v_cvt_f32_f16_e32 v17, v30
	v_dual_add_f32 v14, v14, v23 :: v_dual_add_f32 v4, v4, v26
	ds_bpermute_b32 v23, v8, v1
	v_cvt_f32_f16_e32 v26, v28
	v_add_f32_e32 v4, v4, v18
	v_add_f32_e32 v14, v14, v22
	ds_load_u16 v18, v59 offset:6144
	v_cvt_f32_f16_e32 v22, v29
	v_dual_add_f32 v4, v4, v15 :: v_dual_add_f32 v14, v14, v17
	ds_load_u16 v15, v59 offset:6656
	ds_load_u16 v17, v59 offset:7168
	;; [unrolled: 1-line block ×3, first 2 shown]
	v_dual_add_f32 v4, v4, v20 :: v_dual_add_f32 v14, v14, v22
	v_cvt_f32_f16_e32 v22, v25
	s_wait_dscnt 0x9
	v_cvt_f32_f16_e32 v25, v31
	ds_load_u16 v20, v59 offset:7936
	v_dual_add_f32 v4, v4, v21 :: v_dual_add_f32 v14, v14, v26
	s_wait_dscnt 0x5
	v_add_f32_e32 v1, v1, v23
	v_cvt_f32_f16_e32 v21, v33
	v_cvt_f32_f16_e32 v23, v32
	v_add_f32_e32 v14, v14, v22
	s_wait_dscnt 0x4
	v_cvt_f32_f16_e32 v18, v18
	ds_bpermute_b32 v22, v2, v1
	s_wait_dscnt 0x4
	v_cvt_f32_f16_e32 v15, v15
	v_add_f32_e32 v14, v14, v21
	v_add_f32_e32 v4, v4, v25
	s_wait_dscnt 0x3
	v_cvt_f32_f16_e32 v17, v17
	s_delay_alu instid0(VALU_DEP_2) | instskip(SKIP_1) | instid1(VALU_DEP_1)
	v_dual_add_f32 v14, v14, v23 :: v_dual_add_f32 v4, v4, v18
	v_cvt_f32_f16_e32 v18, v19
	v_dual_add_f32 v4, v4, v15 :: v_dual_add_f32 v14, v14, v18
	v_cvt_f32_f16_e32 v15, v16
	s_wait_dscnt 0x2
	v_cvt_f32_f16_e32 v16, v24
	s_delay_alu instid0(VALU_DEP_3) | instskip(SKIP_2) | instid1(VALU_DEP_2)
	v_add_f32_e32 v4, v4, v17
	s_wait_dscnt 0x1
	v_cvt_f32_f16_e32 v17, v20
	v_dual_add_f32 v14, v14, v15 :: v_dual_add_f32 v15, v4, v16
	s_wait_dscnt 0x0
	s_delay_alu instid0(VALU_DEP_1) | instskip(NEXT) | instid1(VALU_DEP_1)
	v_dual_add_f32 v4, v1, v22 :: v_dual_add_f32 v1, v14, v17
	v_div_scale_f32 v14, null, v4, v4, v15
	v_div_scale_f32 v21, vcc_lo, v15, v4, v15
	s_delay_alu instid0(VALU_DEP_2) | instskip(SKIP_1) | instid1(TRANS32_DEP_1)
	v_rcp_f32_e32 v17, v14
	v_nop
	v_fma_f32 v19, -v14, v17, 1.0
	s_delay_alu instid0(VALU_DEP_1) | instskip(SKIP_2) | instid1(VALU_DEP_2)
	v_fmac_f32_e32 v17, v19, v17
	v_div_scale_f32 v16, null, v4, v4, v1
	v_div_scale_f32 v19, s0, v1, v4, v1
	v_rcp_f32_e32 v18, v16
	v_nop
	s_delay_alu instid0(TRANS32_DEP_1) | instskip(NEXT) | instid1(VALU_DEP_1)
	v_fma_f32 v20, -v16, v18, 1.0
	v_dual_fmac_f32 v18, v20, v18 :: v_dual_mul_f32 v20, v21, v17
	s_delay_alu instid0(VALU_DEP_1) | instskip(NEXT) | instid1(VALU_DEP_1)
	v_dual_mul_f32 v22, v19, v18 :: v_dual_fma_f32 v23, -v14, v20, v21
	v_dual_fma_f32 v24, -v16, v22, v19 :: v_dual_fmac_f32 v20, v23, v17
	s_delay_alu instid0(VALU_DEP_1) | instskip(NEXT) | instid1(VALU_DEP_1)
	v_dual_fmac_f32 v22, v24, v18 :: v_dual_fma_f32 v14, -v14, v20, v21
	v_fma_f32 v16, -v16, v22, v19
	s_delay_alu instid0(VALU_DEP_2)
	v_div_fmas_f32 v14, v14, v17, v20
	s_mov_b32 vcc_lo, s0
	s_cselect_b32 s0, -1, 0
	s_add_co_i32 s1, s1, s40
	v_div_fmas_f32 v16, v16, v18, v22
	s_mul_i32 s4, s1, s35
	v_div_fixup_f32 v14, v14, v4, v15
	s_add_co_i32 s4, s4, s33
	v_cmp_ne_u32_e32 vcc_lo, 1, v60
	v_div_fixup_f32 v16, v16, v4, v1
	s_mul_i32 s1, s3, s4
	v_cndmask_b32_e64 v14, v15, v14, s0
	s_add_co_i32 s1, s1, s41
	s_and_b32 vcc_lo, exec_lo, vcc_lo
	v_lshl_or_b32 v15, s1, 8, v58
	v_cndmask_b32_e64 v16, v1, v16, s0
	v_mov_b32_e32 v1, v53
	s_clause 0x1
	global_store_b32 v15, v14, s[16:17] scale_offset
	global_store_b32 v15, v16, s[16:17] offset:512 scale_offset
	s_wait_storecnt 0x0
	s_barrier_signal -1
	s_barrier_wait -1
	s_cbranch_vccnz .LBB28_74
; %bb.71:
	ds_load_b32 v1, v12 offset:128
	s_clause 0x3
	scratch_load_b128 v[14:17], off, off offset:64
	scratch_load_b128 v[18:21], off, off offset:80
	scratch_load_b128 v[22:25], off, off offset:96
	scratch_load_b128 v[26:29], off, off offset:112
	v_or_b32_e32 v33, 0x100, v6
	s_wait_dscnt 0x0
	ds_bpermute_b32 v12, v10, v1
	s_wait_dscnt 0x0
	v_dual_max_num_f32 v1, v1, v1 :: v_dual_max_num_f32 v12, v12, v12
	s_delay_alu instid0(VALU_DEP_1) | instskip(SKIP_3) | instid1(VALU_DEP_1)
	v_max_num_f32_e32 v1, v1, v12
	ds_bpermute_b32 v12, v11, v1
	s_wait_dscnt 0x0
	v_max_num_f32_e32 v12, v12, v12
	v_max_num_f32_e32 v1, v1, v12
	ds_bpermute_b32 v12, v9, v1
	s_wait_dscnt 0x0
	v_max_num_f32_e32 v12, v12, v12
	s_delay_alu instid0(VALU_DEP_1) | instskip(SKIP_3) | instid1(VALU_DEP_1)
	v_max_num_f32_e32 v1, v1, v12
	ds_bpermute_b32 v12, v8, v1
	s_wait_dscnt 0x0
	v_max_num_f32_e32 v12, v12, v12
	v_max_num_f32_e32 v1, v1, v12
	ds_bpermute_b32 v12, v2, v1
	s_wait_dscnt 0x0
	v_max_num_f32_e32 v12, v12, v12
	s_delay_alu instid0(VALU_DEP_1) | instskip(NEXT) | instid1(VALU_DEP_1)
	v_max_num_f32_e32 v1, v1, v12
	v_sub_f32_e32 v12, v53, v1
	s_delay_alu instid0(VALU_DEP_1) | instskip(NEXT) | instid1(VALU_DEP_1)
	v_mul_f32_e32 v30, 0x3fb8aa3b, v12
	v_fma_f32 v31, 0x3fb8aa3b, v12, -v30
	v_rndne_f32_e32 v32, v30
	s_delay_alu instid0(VALU_DEP_1) | instskip(SKIP_1) | instid1(VALU_DEP_4)
	v_sub_f32_e32 v30, v30, v32
	v_cmp_ngt_f32_e32 vcc_lo, 0xc2ce8ed0, v12
	v_fmamk_f32 v31, v12, 0x32a5705f, v31
	s_delay_alu instid0(VALU_DEP_1) | instskip(SKIP_2) | instid1(VALU_DEP_3)
	v_add_f32_e32 v30, v30, v31
	v_cvt_i32_f32_e32 v31, v32
	v_or_b32_e32 v32, 0x80, v6
	v_exp_f32_e32 v30, v30
	v_nop
	s_delay_alu instid0(TRANS32_DEP_1) | instskip(NEXT) | instid1(VALU_DEP_1)
	v_ldexp_f32 v30, v30, v31
	v_cndmask_b32_e32 v30, 0, v30, vcc_lo
	v_cmp_nlt_f32_e32 vcc_lo, 0x42b17218, v12
	s_delay_alu instid0(VALU_DEP_2) | instskip(NEXT) | instid1(VALU_DEP_1)
	v_cndmask_b32_e32 v12, 0x7f800000, v30, vcc_lo
	v_mul_f32_e32 v30, v5, v12
	ds_bpermute_b32 v30, v10, v30
	s_wait_dscnt 0x0
	v_fmac_f32_e32 v30, v5, v12
	ds_bpermute_b32 v5, v11, v30
	s_wait_dscnt 0x0
	v_add_f32_e32 v5, v30, v5
	v_cvt_f16_f32_e32 v12, v12
	ds_bpermute_b32 v30, v9, v5
	v_and_b32_e32 v12, 0xffff, v12
	s_delay_alu instid0(VALU_DEP_1)
	v_mul_u32_u24_e32 v31, 0x10001, v12
	s_wait_dscnt 0x0
	v_add_f32_e32 v5, v5, v30
	ds_bpermute_b32 v30, v8, v5
	s_wait_loadcnt 0x2
	v_pk_mul_f16 v18, v18, v31
	s_wait_dscnt 0x0
	v_add_f32_e32 v5, v5, v30
	v_pk_mul_f16 v14, v14, v31
	v_pk_mul_f16 v15, v15, v31
	;; [unrolled: 1-line block ×4, first 2 shown]
	ds_bpermute_b32 v12, v2, v5
	v_pk_mul_f16 v19, v19, v31
	v_pk_mul_f16 v20, v20, v31
	;; [unrolled: 1-line block ×3, first 2 shown]
	s_wait_loadcnt 0x1
	v_pk_mul_f16 v22, v22, v31
	v_pk_mul_f16 v23, v23, v31
	;; [unrolled: 1-line block ×4, first 2 shown]
	s_wait_loadcnt 0x0
	v_pk_mul_f16 v26, v26, v31
	v_pk_mul_f16 v27, v27, v31
	;; [unrolled: 1-line block ×4, first 2 shown]
	v_or_b32_e32 v30, 0x180, v6
	s_clause 0x3
	scratch_store_b128 off, v[14:17], off offset:64
	scratch_store_b128 off, v[18:21], off offset:80
	;; [unrolled: 1-line block ×4, first 2 shown]
	ds_store_b128 v6, v[14:17]
	ds_store_b128 v32, v[18:21]
	;; [unrolled: 1-line block ×4, first 2 shown]
	s_wait_xcnt 0x0
	s_and_saveexec_b32 s1, s2
	s_cbranch_execz .LBB28_73
; %bb.72:
	s_wait_dscnt 0x4
	v_add_f32_e32 v5, v5, v12
	ds_store_b32 v13, v5 offset:128
.LBB28_73:
	s_or_b32 exec_lo, exec_lo, s1
	s_wait_storecnt_dscnt 0x0
	s_barrier_signal -1
	s_barrier_wait -1
	ds_load_b32 v3, v3 offset:128
	ds_load_u16 v5, v59
	ds_load_u16 v6, v59 offset:1280
	ds_load_u16 v12, v59 offset:768
	;; [unrolled: 1-line block ×5, first 2 shown]
	s_add_co_i32 s4, s4, s35
	s_wait_dscnt 0x6
	ds_bpermute_b32 v10, v10, v3
	s_wait_dscnt 0x6
	v_cvt_f32_f16_e32 v5, v5
	s_wait_dscnt 0x5
	v_cvt_f32_f16_e32 v6, v6
	;; [unrolled: 2-line block ×6, first 2 shown]
	v_add_f32_e32 v5, 0, v5
	s_delay_alu instid0(VALU_DEP_1)
	v_dual_add_f32 v13, 0, v13 :: v_dual_add_f32 v5, v5, v14
	s_wait_dscnt 0x0
	v_add_f32_e32 v3, v3, v10
	ds_load_u16 v10, v59 offset:1536
	ds_load_u16 v16, v59 offset:2048
	ds_load_u16 v17, v59 offset:3328
	ds_load_u16 v18, v59 offset:2816
	ds_load_u16 v19, v59 offset:2304
	ds_load_u16 v20, v59 offset:1792
	ds_load_u16 v14, v59 offset:2560
	ds_load_u16 v21, v59 offset:3072
	ds_load_u16 v22, v59 offset:3584
	ds_bpermute_b32 v11, v11, v3
	v_add_f32_e32 v12, v13, v12
	s_wait_dscnt 0x7
	v_cvt_f32_f16_e32 v17, v17
	s_wait_dscnt 0x6
	v_cvt_f32_f16_e32 v18, v18
	v_cvt_f32_f16_e32 v10, v10
	s_wait_dscnt 0x4
	v_cvt_f32_f16_e32 v13, v20
	s_wait_dscnt 0x3
	v_cvt_f32_f16_e32 v14, v14
	v_cvt_f32_f16_e32 v19, v19
	s_wait_dscnt 0x0
	v_add_f32_e32 v3, v3, v11
	v_dual_add_f32 v5, v5, v15 :: v_dual_add_f32 v6, v12, v6
	v_cvt_f32_f16_e32 v11, v16
	v_cvt_f32_f16_e32 v21, v21
	ds_bpermute_b32 v9, v9, v3
	v_dual_add_f32 v5, v5, v10 :: v_dual_add_f32 v6, v6, v13
	ds_load_u16 v10, v59 offset:4096
	ds_load_u16 v12, v59 offset:4608
	;; [unrolled: 1-line block ×8, first 2 shown]
	v_add_f32_e32 v5, v5, v11
	ds_load_u16 v11, v59 offset:7424
	ds_load_u16 v13, v59 offset:6912
	;; [unrolled: 1-line block ×4, first 2 shown]
	s_wait_dscnt 0xa
	v_cvt_f32_f16_e32 v12, v12
	s_wait_dscnt 0x9
	v_cvt_f32_f16_e32 v15, v15
	;; [unrolled: 2-line block ×3, first 2 shown]
	v_dual_add_f32 v3, v3, v9 :: v_dual_add_f32 v6, v6, v19
	v_add_f32_e32 v5, v5, v14
	v_cvt_f32_f16_e32 v14, v22
	v_cvt_f32_f16_e32 v9, v10
	ds_bpermute_b32 v8, v8, v3
	v_dual_add_f32 v6, v6, v18 :: v_dual_add_f32 v5, v5, v21
	s_wait_dscnt 0x6
	v_cvt_f32_f16_e32 v10, v24
	v_cvt_f32_f16_e32 v19, v20
	s_delay_alu instid0(VALU_DEP_3)
	v_dual_add_f32 v6, v6, v17 :: v_dual_add_f32 v5, v5, v14
	ds_load_u16 v14, v59 offset:6144
	v_cvt_f32_f16_e32 v17, v23
	v_dual_add_f32 v6, v6, v10 :: v_dual_add_f32 v5, v5, v9
	ds_load_u16 v9, v59 offset:6656
	ds_load_u16 v10, v59 offset:7168
	;; [unrolled: 1-line block ×3, first 2 shown]
	v_dual_add_f32 v6, v6, v17 :: v_dual_add_f32 v5, v5, v12
	s_wait_dscnt 0x9
	v_cvt_f32_f16_e32 v17, v25
	ds_load_u16 v12, v59 offset:7936
	s_wait_dscnt 0x5
	v_dual_add_f32 v3, v3, v8 :: v_dual_add_f32 v6, v6, v19
	v_add_f32_e32 v5, v5, v15
	v_cvt_f32_f16_e32 v8, v27
	v_cvt_f32_f16_e32 v15, v26
	ds_bpermute_b32 v2, v2, v3
	v_dual_add_f32 v6, v6, v16 :: v_dual_add_f32 v5, v5, v17
	s_wait_dscnt 0x5
	v_cvt_f32_f16_e32 v14, v14
	s_delay_alu instid0(VALU_DEP_2) | instskip(SKIP_2) | instid1(VALU_DEP_3)
	v_add_f32_e32 v6, v6, v8
	s_wait_dscnt 0x4
	v_cvt_f32_f16_e32 v8, v9
	v_add_f32_e32 v5, v5, v14
	v_cvt_f32_f16_e32 v9, v13
	s_wait_dscnt 0x3
	v_cvt_f32_f16_e32 v10, v10
	s_delay_alu instid0(VALU_DEP_3) | instskip(SKIP_1) | instid1(VALU_DEP_2)
	v_dual_add_f32 v6, v6, v15 :: v_dual_add_f32 v5, v5, v8
	v_cvt_f32_f16_e32 v8, v11
	v_add_f32_e32 v6, v6, v9
	s_wait_dscnt 0x2
	v_cvt_f32_f16_e32 v9, v18
	v_add_f32_e32 v5, v5, v10
	s_wait_dscnt 0x1
	v_cvt_f32_f16_e32 v10, v12
	s_delay_alu instid0(VALU_DEP_2) | instskip(SKIP_2) | instid1(VALU_DEP_1)
	v_dual_add_f32 v6, v6, v8 :: v_dual_add_f32 v8, v5, v9
	s_wait_dscnt 0x0
	v_add_f32_e32 v5, v3, v2
	v_div_scale_f32 v3, null, v5, v5, v8
	v_div_scale_f32 v13, vcc_lo, v8, v5, v8
	s_delay_alu instid0(VALU_DEP_2) | instskip(SKIP_1) | instid1(TRANS32_DEP_1)
	v_rcp_f32_e32 v9, v3
	v_nop
	v_fma_f32 v11, -v3, v9, 1.0
	s_delay_alu instid0(VALU_DEP_1) | instskip(NEXT) | instid1(VALU_DEP_1)
	v_dual_add_f32 v2, v6, v10 :: v_dual_fmac_f32 v9, v11, v9
	v_div_scale_f32 v6, null, v5, v5, v2
	v_div_scale_f32 v11, s1, v2, v5, v2
	s_delay_alu instid0(VALU_DEP_2) | instskip(SKIP_1) | instid1(TRANS32_DEP_1)
	v_rcp_f32_e32 v10, v6
	v_nop
	v_fma_f32 v12, -v6, v10, 1.0
	s_delay_alu instid0(VALU_DEP_1) | instskip(NEXT) | instid1(VALU_DEP_1)
	v_dual_fmac_f32 v10, v12, v10 :: v_dual_mul_f32 v12, v13, v9
	v_fma_f32 v15, -v3, v12, v13
	s_delay_alu instid0(VALU_DEP_1) | instskip(NEXT) | instid1(VALU_DEP_1)
	v_fmac_f32_e32 v12, v15, v9
	v_fma_f32 v3, -v3, v12, v13
	s_delay_alu instid0(VALU_DEP_1) | instskip(SKIP_2) | instid1(SALU_CYCLE_1)
	v_div_fmas_f32 v3, v3, v9, v12
	s_mov_b32 vcc_lo, s1
	s_mul_i32 s1, s3, s4
	s_add_co_i32 s1, s1, s41
	s_delay_alu instid0(VALU_DEP_1) | instskip(SKIP_2) | instid1(VALU_DEP_2)
	v_div_fixup_f32 v3, v3, v5, v8
	v_mul_f32_e32 v14, v11, v10
	v_lshl_or_b32 v9, s1, 8, v58
	v_dual_cndmask_b32 v3, v8, v3, s0 :: v_dual_fma_f32 v16, -v6, v14, v11
	s_delay_alu instid0(VALU_DEP_1) | instskip(NEXT) | instid1(VALU_DEP_1)
	v_fmac_f32_e32 v14, v16, v10
	v_fma_f32 v6, -v6, v14, v11
	s_delay_alu instid0(VALU_DEP_1) | instskip(NEXT) | instid1(VALU_DEP_1)
	v_div_fmas_f32 v6, v6, v10, v14
	v_div_fixup_f32 v6, v6, v5, v2
	s_delay_alu instid0(VALU_DEP_1)
	v_cndmask_b32_e64 v2, v2, v6, s0
	s_clause 0x1
	global_store_b32 v9, v3, s[16:17] scale_offset
	global_store_b32 v9, v2, s[16:17] offset:512 scale_offset
.LBB28_74:
	v_mov_b64_e32 v[52:53], v[0:1]
.LBB28_75:
	s_load_b32 s1, s[14:15], 0x4
	v_or_b32_e32 v0, s40, v7
	v_cmp_gt_u32_e32 vcc_lo, 2, v58
	s_delay_alu instid0(VALU_DEP_2) | instskip(SKIP_3) | instid1(SALU_CYCLE_1)
	v_cmp_gt_i32_e64 s0, s34, v0
	s_wait_kmcnt 0x0
	s_cmp_lg_u32 s1, 1
	s_cselect_b32 s2, -1, 0
	s_and_b32 s2, s2, vcc_lo
	s_delay_alu instid0(SALU_CYCLE_1) | instskip(NEXT) | instid1(SALU_CYCLE_1)
	s_and_b32 s0, s2, s0
	s_and_saveexec_b32 s2, s0
	s_cbranch_execz .LBB28_77
; %bb.76:
	v_mad_u32 v0, s36, s34, v0
	v_cmp_eq_u32_e32 vcc_lo, 1, v58
	v_cndmask_b32_e32 v1, v4, v5, vcc_lo
	s_delay_alu instid0(VALU_DEP_3) | instskip(NEXT) | instid1(VALU_DEP_1)
	v_mad_u32 v0, v0, s35, s33
	v_mad_u32 v2, s1, v0, s41
	v_cndmask_b32_e32 v0, v52, v53, vcc_lo
	global_store_b64 v2, v[0:1], s[18:19] scale_offset
.LBB28_77:
	s_sendmsg sendmsg(MSG_DEALLOC_VGPRS)
	s_endpgm
	.section	.rodata,"a",@progbits
	.p2align	6, 0x0
	.amdhsa_kernel _ZL18flash_attn_ext_vecILi256ELi2EL9ggml_type1ELS0_1ELb0EEvPKcS2_S2_S2_S2_PKiPfP15HIP_vector_typeIfLj2EEffffjfiS6_IjLj3EEiiiiiiiiiiiliiliiiiil
		.amdhsa_group_segment_fixed_size 8704
		.amdhsa_private_segment_fixed_size 144
		.amdhsa_kernarg_size 464
		.amdhsa_user_sgpr_count 2
		.amdhsa_user_sgpr_dispatch_ptr 0
		.amdhsa_user_sgpr_queue_ptr 0
		.amdhsa_user_sgpr_kernarg_segment_ptr 1
		.amdhsa_user_sgpr_dispatch_id 0
		.amdhsa_user_sgpr_kernarg_preload_length 0
		.amdhsa_user_sgpr_kernarg_preload_offset 0
		.amdhsa_user_sgpr_private_segment_size 0
		.amdhsa_wavefront_size32 1
		.amdhsa_uses_dynamic_stack 0
		.amdhsa_enable_private_segment 1
		.amdhsa_system_sgpr_workgroup_id_x 1
		.amdhsa_system_sgpr_workgroup_id_y 1
		.amdhsa_system_sgpr_workgroup_id_z 1
		.amdhsa_system_sgpr_workgroup_info 0
		.amdhsa_system_vgpr_workitem_id 1
		.amdhsa_next_free_vgpr 254
		.amdhsa_next_free_sgpr 52
		.amdhsa_named_barrier_count 0
		.amdhsa_reserve_vcc 1
		.amdhsa_float_round_mode_32 0
		.amdhsa_float_round_mode_16_64 0
		.amdhsa_float_denorm_mode_32 3
		.amdhsa_float_denorm_mode_16_64 3
		.amdhsa_fp16_overflow 0
		.amdhsa_memory_ordered 1
		.amdhsa_forward_progress 1
		.amdhsa_inst_pref_size 136
		.amdhsa_round_robin_scheduling 0
		.amdhsa_exception_fp_ieee_invalid_op 0
		.amdhsa_exception_fp_denorm_src 0
		.amdhsa_exception_fp_ieee_div_zero 0
		.amdhsa_exception_fp_ieee_overflow 0
		.amdhsa_exception_fp_ieee_underflow 0
		.amdhsa_exception_fp_ieee_inexact 0
		.amdhsa_exception_int_div_zero 0
	.end_amdhsa_kernel
	.section	.text._ZL18flash_attn_ext_vecILi256ELi2EL9ggml_type1ELS0_1ELb0EEvPKcS2_S2_S2_S2_PKiPfP15HIP_vector_typeIfLj2EEffffjfiS6_IjLj3EEiiiiiiiiiiiliiliiiiil,"axG",@progbits,_ZL18flash_attn_ext_vecILi256ELi2EL9ggml_type1ELS0_1ELb0EEvPKcS2_S2_S2_S2_PKiPfP15HIP_vector_typeIfLj2EEffffjfiS6_IjLj3EEiiiiiiiiiiiliiliiiiil,comdat
.Lfunc_end28:
	.size	_ZL18flash_attn_ext_vecILi256ELi2EL9ggml_type1ELS0_1ELb0EEvPKcS2_S2_S2_S2_PKiPfP15HIP_vector_typeIfLj2EEffffjfiS6_IjLj3EEiiiiiiiiiiiliiliiiiil, .Lfunc_end28-_ZL18flash_attn_ext_vecILi256ELi2EL9ggml_type1ELS0_1ELb0EEvPKcS2_S2_S2_S2_PKiPfP15HIP_vector_typeIfLj2EEffffjfiS6_IjLj3EEiiiiiiiiiiiliiliiiiil
                                        ; -- End function
	.set _ZL18flash_attn_ext_vecILi256ELi2EL9ggml_type1ELS0_1ELb0EEvPKcS2_S2_S2_S2_PKiPfP15HIP_vector_typeIfLj2EEffffjfiS6_IjLj3EEiiiiiiiiiiiliiliiiiil.num_vgpr, 254
	.set _ZL18flash_attn_ext_vecILi256ELi2EL9ggml_type1ELS0_1ELb0EEvPKcS2_S2_S2_S2_PKiPfP15HIP_vector_typeIfLj2EEffffjfiS6_IjLj3EEiiiiiiiiiiiliiliiiiil.num_agpr, 0
	.set _ZL18flash_attn_ext_vecILi256ELi2EL9ggml_type1ELS0_1ELb0EEvPKcS2_S2_S2_S2_PKiPfP15HIP_vector_typeIfLj2EEffffjfiS6_IjLj3EEiiiiiiiiiiiliiliiiiil.numbered_sgpr, 52
	.set _ZL18flash_attn_ext_vecILi256ELi2EL9ggml_type1ELS0_1ELb0EEvPKcS2_S2_S2_S2_PKiPfP15HIP_vector_typeIfLj2EEffffjfiS6_IjLj3EEiiiiiiiiiiiliiliiiiil.num_named_barrier, 0
	.set _ZL18flash_attn_ext_vecILi256ELi2EL9ggml_type1ELS0_1ELb0EEvPKcS2_S2_S2_S2_PKiPfP15HIP_vector_typeIfLj2EEffffjfiS6_IjLj3EEiiiiiiiiiiiliiliiiiil.private_seg_size, 144
	.set _ZL18flash_attn_ext_vecILi256ELi2EL9ggml_type1ELS0_1ELb0EEvPKcS2_S2_S2_S2_PKiPfP15HIP_vector_typeIfLj2EEffffjfiS6_IjLj3EEiiiiiiiiiiiliiliiiiil.uses_vcc, 1
	.set _ZL18flash_attn_ext_vecILi256ELi2EL9ggml_type1ELS0_1ELb0EEvPKcS2_S2_S2_S2_PKiPfP15HIP_vector_typeIfLj2EEffffjfiS6_IjLj3EEiiiiiiiiiiiliiliiiiil.uses_flat_scratch, 1
	.set _ZL18flash_attn_ext_vecILi256ELi2EL9ggml_type1ELS0_1ELb0EEvPKcS2_S2_S2_S2_PKiPfP15HIP_vector_typeIfLj2EEffffjfiS6_IjLj3EEiiiiiiiiiiiliiliiiiil.has_dyn_sized_stack, 0
	.set _ZL18flash_attn_ext_vecILi256ELi2EL9ggml_type1ELS0_1ELb0EEvPKcS2_S2_S2_S2_PKiPfP15HIP_vector_typeIfLj2EEffffjfiS6_IjLj3EEiiiiiiiiiiiliiliiiiil.has_recursion, 0
	.set _ZL18flash_attn_ext_vecILi256ELi2EL9ggml_type1ELS0_1ELb0EEvPKcS2_S2_S2_S2_PKiPfP15HIP_vector_typeIfLj2EEffffjfiS6_IjLj3EEiiiiiiiiiiiliiliiiiil.has_indirect_call, 0
	.section	.AMDGPU.csdata,"",@progbits
; Kernel info:
; codeLenInByte = 17380
; TotalNumSgprs: 54
; NumVgprs: 254
; ScratchSize: 144
; MemoryBound: 0
; FloatMode: 240
; IeeeMode: 1
; LDSByteSize: 8704 bytes/workgroup (compile time only)
; SGPRBlocks: 0
; VGPRBlocks: 15
; NumSGPRsForWavesPerEU: 54
; NumVGPRsForWavesPerEU: 254
; NamedBarCnt: 0
; Occupancy: 4
; WaveLimiterHint : 1
; COMPUTE_PGM_RSRC2:SCRATCH_EN: 1
; COMPUTE_PGM_RSRC2:USER_SGPR: 2
; COMPUTE_PGM_RSRC2:TRAP_HANDLER: 0
; COMPUTE_PGM_RSRC2:TGID_X_EN: 1
; COMPUTE_PGM_RSRC2:TGID_Y_EN: 1
; COMPUTE_PGM_RSRC2:TGID_Z_EN: 1
; COMPUTE_PGM_RSRC2:TIDIG_COMP_CNT: 1
	.section	.text._ZL33flash_attn_stream_k_fixup_uniformILi256ELi2ELi1EEvPfPK15HIP_vector_typeIfLj2EEiiiiiiS1_IjLj3EES5_S5_,"axG",@progbits,_ZL33flash_attn_stream_k_fixup_uniformILi256ELi2ELi1EEvPfPK15HIP_vector_typeIfLj2EEiiiiiiS1_IjLj3EES5_S5_,comdat
	.globl	_ZL33flash_attn_stream_k_fixup_uniformILi256ELi2ELi1EEvPfPK15HIP_vector_typeIfLj2EEiiiiiiS1_IjLj3EES5_S5_ ; -- Begin function _ZL33flash_attn_stream_k_fixup_uniformILi256ELi2ELi1EEvPfPK15HIP_vector_typeIfLj2EEiiiiiiS1_IjLj3EES5_S5_
	.p2align	8
	.type	_ZL33flash_attn_stream_k_fixup_uniformILi256ELi2ELi1EEvPfPK15HIP_vector_typeIfLj2EEiiiiiiS1_IjLj3EES5_S5_,@function
_ZL33flash_attn_stream_k_fixup_uniformILi256ELi2ELi1EEvPfPK15HIP_vector_typeIfLj2EEiiiiiiS1_IjLj3EES5_S5_: ; @_ZL33flash_attn_stream_k_fixup_uniformILi256ELi2ELi1EEvPfPK15HIP_vector_typeIfLj2EEiiiiiiS1_IjLj3EES5_S5_
; %bb.0:
	s_load_b256 s[4:11], s[0:1], 0x1c
	s_bfe_u32 s2, ttmp6, 0x40014
	s_lshr_b32 s3, ttmp7, 16
	s_add_co_i32 s2, s2, 1
	s_bfe_u32 s13, ttmp6, 0x40010
	s_mul_i32 s2, s3, s2
	s_bfe_u32 s12, ttmp6, 0x40008
	s_and_b32 s14, ttmp7, 0xffff
	s_add_co_i32 s13, s13, 1
	s_bfe_u32 s15, ttmp6, 0x4000c
	s_add_co_i32 s2, s12, s2
	s_mul_i32 s12, s14, s13
	s_bfe_u32 s13, ttmp6, 0x40004
	s_add_co_i32 s15, s15, 1
	s_add_co_i32 s13, s13, s12
	s_and_b32 s12, ttmp6, 15
	s_mul_i32 s15, ttmp9, s15
	s_getreg_b32 s20, hwreg(HW_REG_IB_STS2, 6, 4)
	s_add_co_i32 s12, s12, s15
	s_load_b128 s[16:19], s[0:1], 0x3c
	s_cmp_eq_u32 s20, 0
	s_cselect_b32 s12, ttmp9, s12
	s_cselect_b32 s13, s14, s13
	s_wait_kmcnt 0x0
	s_mul_hi_u32 s7, s7, s12
	s_cselect_b32 s14, s3, s2
	s_add_co_i32 s2, s12, s7
	s_delay_alu instid0(SALU_CYCLE_1) | instskip(NEXT) | instid1(SALU_CYCLE_1)
	s_lshr_b32 s7, s2, s8
	s_mul_i32 s2, s7, s9
	s_delay_alu instid0(SALU_CYCLE_1) | instskip(NEXT) | instid1(SALU_CYCLE_1)
	s_sub_co_i32 s8, s12, s2
	s_mul_hi_u32 s2, s8, s10
	s_delay_alu instid0(SALU_CYCLE_1) | instskip(SKIP_2) | instid1(SALU_CYCLE_1)
	s_add_co_i32 s9, s8, s2
	s_load_b64 s[2:3], s[0:1], 0x10
	s_lshr_b32 s15, s9, s11
	s_mul_i32 s9, s15, s16
	s_delay_alu instid0(SALU_CYCLE_1) | instskip(NEXT) | instid1(SALU_CYCLE_1)
	s_sub_co_i32 s8, s8, s9
	s_mul_hi_u32 s9, s8, s17
	s_delay_alu instid0(SALU_CYCLE_1) | instskip(NEXT) | instid1(SALU_CYCLE_1)
	s_add_co_i32 s9, s8, s9
	s_lshr_b32 s16, s9, s18
	s_delay_alu instid0(SALU_CYCLE_1) | instskip(NEXT) | instid1(SALU_CYCLE_1)
	s_mul_i32 s9, s16, s19
	s_sub_co_i32 s17, s8, s9
	s_delay_alu instid0(SALU_CYCLE_1) | instskip(NEXT) | instid1(SALU_CYCLE_1)
	s_lshl_b32 s8, s17, 1
	s_add_co_i32 s8, s8, s13
	s_wait_kmcnt 0x0
	s_cmp_lt_i32 s8, s2
	s_cselect_b32 s8, -1, 0
	s_add_co_i32 s9, s16, s14
	s_delay_alu instid0(SALU_CYCLE_1) | instskip(SKIP_1) | instid1(SALU_CYCLE_1)
	s_cmp_lt_i32 s9, s5
	s_cselect_b32 s9, -1, 0
	s_and_b32 s8, s8, s9
	s_delay_alu instid0(SALU_CYCLE_1)
	s_and_not1_b32 vcc_lo, exec_lo, s8
	s_cbranch_vccnz .LBB29_6
; %bb.1:
	s_mul_i32 s2, s7, s2
	s_load_b128 s[8:11], s[0:1], 0x0
	s_wait_xcnt 0x0
	s_add_co_i32 s0, s2, s13
	s_mul_i32 s15, s15, s5
	s_mul_i32 s0, s0, s3
	;; [unrolled: 1-line block ×3, first 2 shown]
	s_add_co_i32 s0, s0, s14
	s_lshl_b32 s1, s1, 9
	s_add_co_i32 s0, s0, s15
	s_mul_i32 s7, s6, s12
	s_add_co_i32 s0, s0, s16
	s_add_co_i32 s5, s7, s6
	s_lshl_b32 s0, s0, 8
	s_add_co_i32 s13, s13, s14
	s_add_co_i32 s1, s1, s0
	s_lshl_b32 s0, s5, 1
	v_or_b32_e32 v4, s1, v0
	s_add_co_i32 s0, s13, s0
	s_add_co_i32 s2, s5, -2
	s_add_co_i32 s0, s0, -2
	s_delay_alu instid0(SALU_CYCLE_1)
	s_ashr_i32 s1, s0, 31
	s_wait_kmcnt 0x0
	global_load_b32 v3, v4, s[8:9] scale_offset
	s_lshl_b64 s[0:1], s[0:1], 3
	v_ashrrev_i32_e32 v5, 31, v4
	s_add_nc_u64 s[0:1], s[10:11], s[0:1]
	s_cmp_lt_i32 s2, s7
	s_load_b32 s14, s[0:1], 0x4
	s_cbranch_scc1 .LBB29_4
; %bb.2:
	s_wait_xcnt 0x0
	s_load_b32 s0, s[0:1], 0x0
	s_add_co_i32 s12, s12, 1
	s_lshl_b32 s3, s13, 8
	s_wait_xcnt 0x0
	s_mul_i32 s1, s6, s12
	s_lshl_b32 s2, s4, 3
	s_lshl_b32 s6, s1, 9
	;; [unrolled: 1-line block ×3, first 2 shown]
	s_add_co_i32 s6, s3, s6
	s_ashr_i32 s3, s2, 31
	s_wait_kmcnt 0x0
	v_dual_mov_b32 v2, s14 :: v_dual_bitop2_b32 v0, s6, v0 bitop3:0x54
	s_add_co_i32 s1, s13, s1
	s_lshl_b32 s4, s4, 1
	s_lshl_b64 s[2:3], s[2:3], 2
	s_delay_alu instid0(VALU_DEP_1)
	v_add_nc_u32_e32 v0, 0xfffffc00, v0
	s_add_co_i32 s4, s1, s4
	s_add_nc_u64 s[2:3], s[10:11], s[2:3]
	s_add_co_i32 s1, s5, -1
	s_add_co_i32 s4, s4, -4
.LBB29_3:                               ; =>This Inner Loop Header: Depth=1
	global_load_b32 v7, v0, s[2:3] scale_offset
	s_ashr_i32 s5, s4, 31
	v_max_num_f32_e64 v1, s0, s0
	s_lshl_b64 s[12:13], s[4:5], 3
	s_delay_alu instid0(SALU_CYCLE_1) | instskip(SKIP_1) | instid1(VALU_DEP_1)
	s_add_nc_u64 s[12:13], s[10:11], s[12:13]
	s_load_b64 s[12:13], s[12:13], 0x0
	v_readfirstlane_b32 s5, v1
	v_add_nc_u32_e32 v0, 0xfffffe00, v0
	s_wait_kmcnt 0x0
	v_max_num_f32_e64 v1, s12, s12
	s_delay_alu instid0(VALU_DEP_1) | instskip(SKIP_1) | instid1(SALU_CYCLE_3)
	v_readfirstlane_b32 s6, v1
	s_max_num_f32 s5, s5, s6
	s_sub_f32 s0, s0, s5
	s_sub_f32 s6, s12, s5
	s_delay_alu instid0(SALU_CYCLE_2) | instskip(NEXT) | instid1(SALU_CYCLE_2)
	s_mul_f32 s12, s0, 0x3fb8aa3b
	s_mul_f32 s14, s6, 0x3fb8aa3b
	s_delay_alu instid0(SALU_CYCLE_2)
	s_xor_b32 s15, s12, 0x80000000
	s_rndne_f32 s16, s12
	s_fmamk_f32 s15, s0, 0x3fb8aa3b, s15
	s_cmp_nlt_f32 s0, 0xc2ce8ed0
	s_rndne_f32 s17, s14
	s_sub_f32 s12, s12, s16
	s_fmamk_f32 s15, s0, 0x32a5705f, s15
	s_cselect_b32 vcc_lo, -1, 0
	s_cmp_ngt_f32 s0, 0x42b17218
	s_delay_alu instid0(SALU_CYCLE_1) | instskip(SKIP_2) | instid1(SALU_CYCLE_1)
	s_add_f32 s12, s12, s15
	s_cvt_i32_f32 s15, s16
	s_sub_f32 s16, s14, s17
	v_s_exp_f32 s12, s12
	v_nop
	s_delay_alu instid0(TRANS32_DEP_1) | instskip(SKIP_1) | instid1(VALU_DEP_1)
	v_ldexp_f32 v1, s12, s15
	s_cvt_i32_f32 s12, s17
	v_cndmask_b32_e32 v1, 0, v1, vcc_lo
	s_cselect_b32 vcc_lo, -1, 0
	s_cmp_ge_f32 s0, 0xc1a00000
	s_delay_alu instid0(VALU_DEP_1)
	v_cndmask_b32_e32 v1, 0x7f800000, v1, vcc_lo
	s_cselect_b32 vcc_lo, -1, 0
	s_xor_b32 s0, s14, 0x80000000
	s_cmp_nlt_f32 s6, 0xc2ce8ed0
	s_fmamk_f32 s0, s6, 0x3fb8aa3b, s0
	v_cndmask_b32_e32 v10, 0, v1, vcc_lo
	s_delay_alu instid0(SALU_CYCLE_2) | instskip(NEXT) | instid1(SALU_CYCLE_3)
	s_fmamk_f32 s0, s6, 0x32a5705f, s0
	s_add_f32 s0, s16, s0
	s_delay_alu instid0(SALU_CYCLE_3) | instskip(SKIP_1) | instid1(TRANS32_DEP_1)
	v_s_exp_f32 s0, s0
	v_nop
	v_ldexp_f32 v6, s0, s12
	s_cselect_b32 s0, -1, 0
	s_cmp_ngt_f32 s6, 0x42b17218
	s_delay_alu instid0(VALU_DEP_1) | instskip(SKIP_2) | instid1(VALU_DEP_1)
	v_cndmask_b32_e64 v6, 0, v6, s0
	s_cselect_b32 s0, -1, 0
	s_cmp_ge_f32 s6, 0xc1a00000
	v_cndmask_b32_e64 v8, 0x7f800000, v6, s0
	s_cselect_b32 s0, -1, 0
	v_mov_b32_e32 v6, s13
	s_add_co_i32 s1, s1, -1
	s_add_co_i32 s4, s4, -2
	v_cndmask_b32_e64 v8, 0, v8, s0
	s_cmp_le_i32 s1, s7
	s_mov_b32 s0, s5
	s_wait_loadcnt 0x0
	s_delay_alu instid0(VALU_DEP_1) | instskip(NEXT) | instid1(VALU_DEP_1)
	v_pk_mul_f32 v[6:7], v[6:7], v[8:9] op_sel_hi:[1,0]
	v_pk_fma_f32 v[2:3], v[2:3], v[10:11], v[6:7] op_sel_hi:[1,0,1]
	s_cbranch_scc0 .LBB29_3
	s_branch .LBB29_5
.LBB29_4:
	s_wait_kmcnt 0x0
	v_mov_b32_e32 v2, s14
.LBB29_5:
	v_lshl_add_u64 v[0:1], v[4:5], 2, s[8:9]
	s_wait_loadcnt 0x0
	s_delay_alu instid0(VALU_DEP_2) | instskip(NEXT) | instid1(VALU_DEP_1)
	v_div_scale_f32 v4, null, v2, v2, v3
	v_rcp_f32_e32 v5, v4
	v_nop
	s_delay_alu instid0(TRANS32_DEP_1) | instskip(NEXT) | instid1(VALU_DEP_1)
	v_fma_f32 v6, -v4, v5, 1.0
	v_fmac_f32_e32 v5, v6, v5
	v_div_scale_f32 v6, vcc_lo, v3, v2, v3
	s_delay_alu instid0(VALU_DEP_1) | instskip(NEXT) | instid1(VALU_DEP_1)
	v_mul_f32_e32 v7, v6, v5
	v_fma_f32 v8, -v4, v7, v6
	s_delay_alu instid0(VALU_DEP_1) | instskip(NEXT) | instid1(VALU_DEP_1)
	v_fmac_f32_e32 v7, v8, v5
	v_fma_f32 v4, -v4, v7, v6
	s_delay_alu instid0(VALU_DEP_1) | instskip(NEXT) | instid1(VALU_DEP_1)
	v_div_fmas_f32 v4, v4, v5, v7
	v_div_fixup_f32 v2, v4, v2, v3
	global_store_b32 v[0:1], v2, off
.LBB29_6:
	s_endpgm
	.section	.rodata,"a",@progbits
	.p2align	6, 0x0
	.amdhsa_kernel _ZL33flash_attn_stream_k_fixup_uniformILi256ELi2ELi1EEvPfPK15HIP_vector_typeIfLj2EEiiiiiiS1_IjLj3EES5_S5_
		.amdhsa_group_segment_fixed_size 0
		.amdhsa_private_segment_fixed_size 0
		.amdhsa_kernarg_size 76
		.amdhsa_user_sgpr_count 2
		.amdhsa_user_sgpr_dispatch_ptr 0
		.amdhsa_user_sgpr_queue_ptr 0
		.amdhsa_user_sgpr_kernarg_segment_ptr 1
		.amdhsa_user_sgpr_dispatch_id 0
		.amdhsa_user_sgpr_kernarg_preload_length 0
		.amdhsa_user_sgpr_kernarg_preload_offset 0
		.amdhsa_user_sgpr_private_segment_size 0
		.amdhsa_wavefront_size32 1
		.amdhsa_uses_dynamic_stack 0
		.amdhsa_enable_private_segment 0
		.amdhsa_system_sgpr_workgroup_id_x 1
		.amdhsa_system_sgpr_workgroup_id_y 1
		.amdhsa_system_sgpr_workgroup_id_z 1
		.amdhsa_system_sgpr_workgroup_info 0
		.amdhsa_system_vgpr_workitem_id 0
		.amdhsa_next_free_vgpr 12
		.amdhsa_next_free_sgpr 21
		.amdhsa_named_barrier_count 0
		.amdhsa_reserve_vcc 1
		.amdhsa_float_round_mode_32 0
		.amdhsa_float_round_mode_16_64 0
		.amdhsa_float_denorm_mode_32 3
		.amdhsa_float_denorm_mode_16_64 3
		.amdhsa_fp16_overflow 0
		.amdhsa_memory_ordered 1
		.amdhsa_forward_progress 1
		.amdhsa_inst_pref_size 9
		.amdhsa_round_robin_scheduling 0
		.amdhsa_exception_fp_ieee_invalid_op 0
		.amdhsa_exception_fp_denorm_src 0
		.amdhsa_exception_fp_ieee_div_zero 0
		.amdhsa_exception_fp_ieee_overflow 0
		.amdhsa_exception_fp_ieee_underflow 0
		.amdhsa_exception_fp_ieee_inexact 0
		.amdhsa_exception_int_div_zero 0
	.end_amdhsa_kernel
	.section	.text._ZL33flash_attn_stream_k_fixup_uniformILi256ELi2ELi1EEvPfPK15HIP_vector_typeIfLj2EEiiiiiiS1_IjLj3EES5_S5_,"axG",@progbits,_ZL33flash_attn_stream_k_fixup_uniformILi256ELi2ELi1EEvPfPK15HIP_vector_typeIfLj2EEiiiiiiS1_IjLj3EES5_S5_,comdat
.Lfunc_end29:
	.size	_ZL33flash_attn_stream_k_fixup_uniformILi256ELi2ELi1EEvPfPK15HIP_vector_typeIfLj2EEiiiiiiS1_IjLj3EES5_S5_, .Lfunc_end29-_ZL33flash_attn_stream_k_fixup_uniformILi256ELi2ELi1EEvPfPK15HIP_vector_typeIfLj2EEiiiiiiS1_IjLj3EES5_S5_
                                        ; -- End function
	.set _ZL33flash_attn_stream_k_fixup_uniformILi256ELi2ELi1EEvPfPK15HIP_vector_typeIfLj2EEiiiiiiS1_IjLj3EES5_S5_.num_vgpr, 12
	.set _ZL33flash_attn_stream_k_fixup_uniformILi256ELi2ELi1EEvPfPK15HIP_vector_typeIfLj2EEiiiiiiS1_IjLj3EES5_S5_.num_agpr, 0
	.set _ZL33flash_attn_stream_k_fixup_uniformILi256ELi2ELi1EEvPfPK15HIP_vector_typeIfLj2EEiiiiiiS1_IjLj3EES5_S5_.numbered_sgpr, 21
	.set _ZL33flash_attn_stream_k_fixup_uniformILi256ELi2ELi1EEvPfPK15HIP_vector_typeIfLj2EEiiiiiiS1_IjLj3EES5_S5_.num_named_barrier, 0
	.set _ZL33flash_attn_stream_k_fixup_uniformILi256ELi2ELi1EEvPfPK15HIP_vector_typeIfLj2EEiiiiiiS1_IjLj3EES5_S5_.private_seg_size, 0
	.set _ZL33flash_attn_stream_k_fixup_uniformILi256ELi2ELi1EEvPfPK15HIP_vector_typeIfLj2EEiiiiiiS1_IjLj3EES5_S5_.uses_vcc, 1
	.set _ZL33flash_attn_stream_k_fixup_uniformILi256ELi2ELi1EEvPfPK15HIP_vector_typeIfLj2EEiiiiiiS1_IjLj3EES5_S5_.uses_flat_scratch, 0
	.set _ZL33flash_attn_stream_k_fixup_uniformILi256ELi2ELi1EEvPfPK15HIP_vector_typeIfLj2EEiiiiiiS1_IjLj3EES5_S5_.has_dyn_sized_stack, 0
	.set _ZL33flash_attn_stream_k_fixup_uniformILi256ELi2ELi1EEvPfPK15HIP_vector_typeIfLj2EEiiiiiiS1_IjLj3EES5_S5_.has_recursion, 0
	.set _ZL33flash_attn_stream_k_fixup_uniformILi256ELi2ELi1EEvPfPK15HIP_vector_typeIfLj2EEiiiiiiS1_IjLj3EES5_S5_.has_indirect_call, 0
	.section	.AMDGPU.csdata,"",@progbits
; Kernel info:
; codeLenInByte = 1080
; TotalNumSgprs: 23
; NumVgprs: 12
; ScratchSize: 0
; MemoryBound: 0
; FloatMode: 240
; IeeeMode: 1
; LDSByteSize: 0 bytes/workgroup (compile time only)
; SGPRBlocks: 0
; VGPRBlocks: 0
; NumSGPRsForWavesPerEU: 23
; NumVGPRsForWavesPerEU: 12
; NamedBarCnt: 0
; Occupancy: 16
; WaveLimiterHint : 0
; COMPUTE_PGM_RSRC2:SCRATCH_EN: 0
; COMPUTE_PGM_RSRC2:USER_SGPR: 2
; COMPUTE_PGM_RSRC2:TRAP_HANDLER: 0
; COMPUTE_PGM_RSRC2:TGID_X_EN: 1
; COMPUTE_PGM_RSRC2:TGID_Y_EN: 1
; COMPUTE_PGM_RSRC2:TGID_Z_EN: 1
; COMPUTE_PGM_RSRC2:TIDIG_COMP_CNT: 0
	.section	.text._ZL33flash_attn_stream_k_fixup_generalILi256ELi2ELi1EEvPfPK15HIP_vector_typeIfLj2EEiiiiS1_IjLj3EES5_S5_S5_,"axG",@progbits,_ZL33flash_attn_stream_k_fixup_generalILi256ELi2ELi1EEvPfPK15HIP_vector_typeIfLj2EEiiiiS1_IjLj3EES5_S5_S5_,comdat
	.globl	_ZL33flash_attn_stream_k_fixup_generalILi256ELi2ELi1EEvPfPK15HIP_vector_typeIfLj2EEiiiiS1_IjLj3EES5_S5_S5_ ; -- Begin function _ZL33flash_attn_stream_k_fixup_generalILi256ELi2ELi1EEvPfPK15HIP_vector_typeIfLj2EEiiiiS1_IjLj3EES5_S5_S5_
	.p2align	8
	.type	_ZL33flash_attn_stream_k_fixup_generalILi256ELi2ELi1EEvPfPK15HIP_vector_typeIfLj2EEiiiiS1_IjLj3EES5_S5_S5_,@function
_ZL33flash_attn_stream_k_fixup_generalILi256ELi2ELi1EEvPfPK15HIP_vector_typeIfLj2EEiiiiS1_IjLj3EES5_S5_S5_: ; @_ZL33flash_attn_stream_k_fixup_generalILi256ELi2ELi1EEvPfPK15HIP_vector_typeIfLj2EEiiiiS1_IjLj3EES5_S5_S5_
; %bb.0:
	s_clause 0x1
	s_load_b128 s[4:7], s[0:1], 0x10
	s_load_b32 s16, s[0:1], 0x50
	s_bfe_u32 s2, ttmp6, 0x4000c
	s_and_b32 s3, ttmp6, 15
	s_add_co_i32 s2, s2, 1
	s_getreg_b32 s15, hwreg(HW_REG_IB_STS2, 6, 4)
	s_mul_i32 s2, ttmp9, s2
	s_mov_b32 s17, 0
	s_add_co_i32 s3, s3, s2
	s_cmp_eq_u32 s15, 0
	s_cselect_b32 s2, ttmp9, s3
	s_delay_alu instid0(SALU_CYCLE_1) | instskip(SKIP_3) | instid1(SALU_CYCLE_1)
	s_ashr_i32 s3, s2, 31
	s_wait_kmcnt 0x0
	s_ashr_i32 s19, s7, 31
	s_mov_b32 s18, s7
	s_mul_u64 s[8:9], s[18:19], s[2:3]
	s_delay_alu instid0(SALU_CYCLE_1) | instskip(NEXT) | instid1(SALU_CYCLE_1)
	s_and_b64 s[10:11], s[8:9], 0xffffffff00000000
	s_cmp_lg_u64 s[10:11], 0
	s_cbranch_scc0 .LBB30_21
; %bb.1:
	s_add_nc_u64 s[10:11], s[16:17], 0
	s_mov_b32 s23, s17
	s_xor_b64 s[10:11], s[10:11], 0
	s_mov_b32 s27, s17
	s_cvt_f32_u32 s3, s10
	s_cvt_f32_u32 s7, s11
	s_sub_nc_u64 s[20:21], 0, s[10:11]
	s_delay_alu instid0(SALU_CYCLE_2) | instskip(NEXT) | instid1(SALU_CYCLE_3)
	s_fmamk_f32 s3, s7, 0x4f800000, s3
	v_s_rcp_f32 s3, s3
	s_delay_alu instid0(TRANS32_DEP_1) | instskip(NEXT) | instid1(SALU_CYCLE_3)
	s_mul_f32 s3, s3, 0x5f7ffffc
	s_mul_f32 s7, s3, 0x2f800000
	s_delay_alu instid0(SALU_CYCLE_3) | instskip(NEXT) | instid1(SALU_CYCLE_3)
	s_trunc_f32 s7, s7
	s_fmamk_f32 s3, s7, 0xcf800000, s3
	s_cvt_u32_f32 s13, s7
	s_delay_alu instid0(SALU_CYCLE_2) | instskip(NEXT) | instid1(SALU_CYCLE_3)
	s_cvt_u32_f32 s12, s3
	s_mul_u64 s[24:25], s[20:21], s[12:13]
	s_delay_alu instid0(SALU_CYCLE_1)
	s_mul_hi_u32 s29, s12, s25
	s_mul_i32 s28, s12, s25
	s_mul_hi_u32 s22, s12, s24
	s_mul_i32 s7, s13, s24
	s_add_nc_u64 s[22:23], s[22:23], s[28:29]
	s_mul_hi_u32 s3, s13, s24
	s_mul_hi_u32 s14, s13, s25
	s_add_co_u32 s7, s22, s7
	s_add_co_ci_u32 s26, s23, s3
	s_mul_i32 s24, s13, s25
	s_add_co_ci_u32 s25, s14, 0
	s_delay_alu instid0(SALU_CYCLE_1) | instskip(SKIP_3) | instid1(SALU_CYCLE_1)
	s_add_nc_u64 s[22:23], s[26:27], s[24:25]
	s_mov_b32 s25, s17
	s_add_co_u32 s12, s12, s22
	s_cselect_b32 s3, -1, 0
	s_cmp_lg_u32 s3, 0
	s_add_co_ci_u32 s13, s13, s23
	s_mov_b32 s23, s17
	s_mul_u64 s[20:21], s[20:21], s[12:13]
	s_delay_alu instid0(SALU_CYCLE_1)
	s_mul_hi_u32 s27, s12, s21
	s_mul_i32 s26, s12, s21
	s_mul_hi_u32 s22, s12, s20
	s_mul_i32 s7, s13, s20
	s_add_nc_u64 s[22:23], s[22:23], s[26:27]
	s_mul_hi_u32 s3, s13, s20
	s_mul_hi_u32 s14, s13, s21
	s_add_co_u32 s7, s22, s7
	s_add_co_ci_u32 s24, s23, s3
	s_mul_i32 s20, s13, s21
	s_add_co_ci_u32 s21, s14, 0
	s_mov_b32 s23, s17
	s_add_nc_u64 s[20:21], s[24:25], s[20:21]
	s_delay_alu instid0(SALU_CYCLE_1) | instskip(SKIP_1) | instid1(SALU_CYCLE_1)
	s_add_co_u32 s3, s12, s20
	s_cselect_b32 s7, -1, 0
	s_cmp_lg_u32 s7, 0
	s_add_co_ci_u32 s7, s13, s21
	s_ashr_i32 s12, s9, 31
	s_delay_alu instid0(SALU_CYCLE_1) | instskip(NEXT) | instid1(SALU_CYCLE_1)
	s_mov_b32 s13, s12
	s_add_nc_u64 s[20:21], s[8:9], s[12:13]
	s_delay_alu instid0(SALU_CYCLE_1) | instskip(NEXT) | instid1(SALU_CYCLE_1)
	s_xor_b64 s[20:21], s[20:21], s[12:13]
	s_mul_hi_u32 s27, s20, s7
	s_mul_i32 s26, s20, s7
	s_mul_hi_u32 s22, s20, s3
	s_mul_hi_u32 s14, s21, s3
	s_mul_i32 s3, s21, s3
	s_add_nc_u64 s[22:23], s[22:23], s[26:27]
	s_mul_hi_u32 s9, s21, s7
	s_add_co_u32 s3, s22, s3
	s_add_co_ci_u32 s24, s23, s14
	s_mul_i32 s26, s21, s7
	s_add_co_ci_u32 s27, s9, 0
	s_delay_alu instid0(SALU_CYCLE_1) | instskip(NEXT) | instid1(SALU_CYCLE_1)
	s_add_nc_u64 s[22:23], s[24:25], s[26:27]
	s_and_b64 s[24:25], s[22:23], 0xffffffff00000000
	s_delay_alu instid0(SALU_CYCLE_1) | instskip(NEXT) | instid1(SALU_CYCLE_1)
	s_or_b32 s24, s24, s22
	s_mul_u64 s[22:23], s[10:11], s[24:25]
	s_add_nc_u64 s[26:27], s[24:25], 1
	s_sub_co_u32 s3, s20, s22
	s_cselect_b32 s7, -1, 0
	s_sub_co_i32 s9, s21, s23
	s_cmp_lg_u32 s7, 0
	s_add_nc_u64 s[28:29], s[24:25], 2
	s_sub_co_ci_u32 s9, s9, s11
	s_sub_co_u32 s14, s3, s10
	s_cselect_b32 s20, -1, 0
	s_delay_alu instid0(SALU_CYCLE_1) | instskip(SKIP_1) | instid1(SALU_CYCLE_1)
	s_cmp_lg_u32 s20, 0
	s_sub_co_ci_u32 s9, s9, 0
	s_cmp_ge_u32 s9, s11
	s_cselect_b32 s20, -1, 0
	s_cmp_ge_u32 s14, s10
	s_cselect_b32 s14, -1, 0
	s_cmp_eq_u32 s9, s11
	s_cselect_b32 s9, s14, s20
	s_delay_alu instid0(SALU_CYCLE_1) | instskip(SKIP_4) | instid1(SALU_CYCLE_1)
	s_cmp_lg_u32 s9, 0
	s_cselect_b32 s9, s28, s26
	s_cselect_b32 s14, s29, s27
	s_cmp_lg_u32 s7, 0
	s_sub_co_ci_u32 s7, s21, s23
	s_cmp_ge_u32 s7, s11
	s_cselect_b32 s20, -1, 0
	s_cmp_ge_u32 s3, s10
	s_cselect_b32 s3, -1, 0
	s_cmp_eq_u32 s7, s11
	s_cselect_b32 s3, s3, s20
	s_delay_alu instid0(SALU_CYCLE_1) | instskip(SKIP_4) | instid1(SALU_CYCLE_1)
	s_cmp_lg_u32 s3, 0
	s_mov_b32 s3, s17
	s_cselect_b32 s11, s14, s25
	s_cselect_b32 s10, s9, s24
	s_xor_b64 s[12:13], s[12:13], 0
	s_xor_b64 s[10:11], s[10:11], s[12:13]
	s_delay_alu instid0(SALU_CYCLE_1)
	s_sub_nc_u64 s[20:21], s[10:11], s[12:13]
	s_and_not1_b32 vcc_lo, exec_lo, s3
	s_cbranch_vccnz .LBB30_3
.LBB30_2:
	v_cvt_f32_u32_e32 v1, s16
	s_sub_co_i32 s7, 0, s16
	s_mov_b32 s21, 0
	s_delay_alu instid0(VALU_DEP_1) | instskip(SKIP_1) | instid1(TRANS32_DEP_1)
	v_rcp_iflag_f32_e32 v1, v1
	v_nop
	v_mul_f32_e32 v1, 0x4f7ffffe, v1
	s_delay_alu instid0(VALU_DEP_1) | instskip(NEXT) | instid1(VALU_DEP_1)
	v_cvt_u32_f32_e32 v1, v1
	v_readfirstlane_b32 s3, v1
	s_mul_i32 s7, s7, s3
	s_delay_alu instid0(SALU_CYCLE_1) | instskip(NEXT) | instid1(SALU_CYCLE_1)
	s_mul_hi_u32 s7, s3, s7
	s_add_co_i32 s3, s3, s7
	s_delay_alu instid0(SALU_CYCLE_1) | instskip(NEXT) | instid1(SALU_CYCLE_1)
	s_mul_hi_u32 s3, s8, s3
	s_mul_i32 s7, s3, s16
	s_delay_alu instid0(SALU_CYCLE_1)
	s_sub_co_i32 s7, s8, s7
	s_add_co_i32 s8, s3, 1
	s_sub_co_i32 s9, s7, s16
	s_cmp_ge_u32 s7, s16
	s_cselect_b32 s3, s8, s3
	s_cselect_b32 s7, s9, s7
	s_add_co_i32 s8, s3, 1
	s_cmp_ge_u32 s7, s16
	s_cselect_b32 s20, s8, s3
.LBB30_3:
	s_add_co_i32 s8, s2, 1
	s_delay_alu instid0(SALU_CYCLE_1) | instskip(NEXT) | instid1(SALU_CYCLE_1)
	s_ashr_i32 s9, s8, 31
	s_mul_u64 s[8:9], s[18:19], s[8:9]
	s_delay_alu instid0(SALU_CYCLE_1) | instskip(NEXT) | instid1(SALU_CYCLE_1)
	s_and_b64 s[10:11], s[8:9], 0xffffffff00000000
	s_cmp_lg_u64 s[10:11], 0
	s_cbranch_scc0 .LBB30_22
; %bb.4:
	s_add_nc_u64 s[10:11], s[16:17], 0
	s_delay_alu instid0(SALU_CYCLE_1) | instskip(SKIP_4) | instid1(SALU_CYCLE_2)
	s_xor_b64 s[12:13], s[10:11], 0
	s_mov_b32 s11, 0
	s_cvt_f32_u32 s3, s12
	s_cvt_f32_u32 s7, s13
	s_sub_nc_u64 s[24:25], 0, s[12:13]
	s_fmamk_f32 s3, s7, 0x4f800000, s3
	s_delay_alu instid0(SALU_CYCLE_3) | instskip(NEXT) | instid1(TRANS32_DEP_1)
	v_s_rcp_f32 s3, s3
	s_mul_f32 s3, s3, 0x5f7ffffc
	s_delay_alu instid0(SALU_CYCLE_3) | instskip(NEXT) | instid1(SALU_CYCLE_3)
	s_mul_f32 s7, s3, 0x2f800000
	s_trunc_f32 s7, s7
	s_delay_alu instid0(SALU_CYCLE_3) | instskip(SKIP_1) | instid1(SALU_CYCLE_2)
	s_fmamk_f32 s3, s7, 0xcf800000, s3
	s_cvt_u32_f32 s23, s7
	s_cvt_u32_f32 s22, s3
	s_delay_alu instid0(SALU_CYCLE_3) | instskip(NEXT) | instid1(SALU_CYCLE_1)
	s_mul_u64 s[26:27], s[24:25], s[22:23]
	s_mul_hi_u32 s29, s22, s27
	s_mul_i32 s28, s22, s27
	s_mul_hi_u32 s10, s22, s26
	s_mul_i32 s7, s23, s26
	s_add_nc_u64 s[28:29], s[10:11], s[28:29]
	s_mul_hi_u32 s3, s23, s26
	s_mul_hi_u32 s14, s23, s27
	s_add_co_u32 s7, s28, s7
	s_add_co_ci_u32 s10, s29, s3
	s_mul_i32 s26, s23, s27
	s_add_co_ci_u32 s27, s14, 0
	s_delay_alu instid0(SALU_CYCLE_1) | instskip(NEXT) | instid1(SALU_CYCLE_1)
	s_add_nc_u64 s[26:27], s[10:11], s[26:27]
	s_add_co_u32 s22, s22, s26
	s_cselect_b32 s3, -1, 0
	s_delay_alu instid0(SALU_CYCLE_1) | instskip(SKIP_1) | instid1(SALU_CYCLE_1)
	s_cmp_lg_u32 s3, 0
	s_add_co_ci_u32 s23, s23, s27
	s_mul_u64 s[24:25], s[24:25], s[22:23]
	s_delay_alu instid0(SALU_CYCLE_1)
	s_mul_hi_u32 s27, s22, s25
	s_mul_i32 s26, s22, s25
	s_mul_hi_u32 s10, s22, s24
	s_mul_i32 s7, s23, s24
	s_add_nc_u64 s[26:27], s[10:11], s[26:27]
	s_mul_hi_u32 s3, s23, s24
	s_mul_hi_u32 s14, s23, s25
	s_add_co_u32 s7, s26, s7
	s_add_co_ci_u32 s10, s27, s3
	s_mul_i32 s24, s23, s25
	s_add_co_ci_u32 s25, s14, 0
	s_delay_alu instid0(SALU_CYCLE_1) | instskip(NEXT) | instid1(SALU_CYCLE_1)
	s_add_nc_u64 s[24:25], s[10:11], s[24:25]
	s_add_co_u32 s3, s22, s24
	s_cselect_b32 s7, -1, 0
	s_delay_alu instid0(SALU_CYCLE_1) | instskip(SKIP_2) | instid1(SALU_CYCLE_1)
	s_cmp_lg_u32 s7, 0
	s_add_co_ci_u32 s7, s23, s25
	s_ashr_i32 s22, s9, 31
	s_mov_b32 s23, s22
	s_delay_alu instid0(SALU_CYCLE_1) | instskip(NEXT) | instid1(SALU_CYCLE_1)
	s_add_nc_u64 s[24:25], s[8:9], s[22:23]
	s_xor_b64 s[24:25], s[24:25], s[22:23]
	s_delay_alu instid0(SALU_CYCLE_1)
	s_mul_hi_u32 s27, s24, s7
	s_mul_i32 s26, s24, s7
	s_mul_hi_u32 s10, s24, s3
	s_mul_hi_u32 s14, s25, s3
	s_mul_i32 s3, s25, s3
	s_add_nc_u64 s[26:27], s[10:11], s[26:27]
	s_mul_hi_u32 s9, s25, s7
	s_add_co_u32 s3, s26, s3
	s_add_co_ci_u32 s10, s27, s14
	s_mul_i32 s28, s25, s7
	s_add_co_ci_u32 s29, s9, 0
	s_delay_alu instid0(SALU_CYCLE_1) | instskip(NEXT) | instid1(SALU_CYCLE_1)
	s_add_nc_u64 s[26:27], s[10:11], s[28:29]
	s_and_b64 s[28:29], s[26:27], 0xffffffff00000000
	s_delay_alu instid0(SALU_CYCLE_1) | instskip(NEXT) | instid1(SALU_CYCLE_1)
	s_or_b32 s28, s28, s26
	s_mul_u64 s[26:27], s[12:13], s[28:29]
	s_add_nc_u64 s[30:31], s[28:29], 1
	s_sub_co_u32 s3, s24, s26
	s_cselect_b32 s7, -1, 0
	s_sub_co_i32 s9, s25, s27
	s_cmp_lg_u32 s7, 0
	s_add_nc_u64 s[34:35], s[28:29], 2
	s_sub_co_ci_u32 s9, s9, s13
	s_sub_co_u32 s10, s3, s12
	s_cselect_b32 s14, -1, 0
	s_delay_alu instid0(SALU_CYCLE_1) | instskip(SKIP_1) | instid1(SALU_CYCLE_1)
	s_cmp_lg_u32 s14, 0
	s_sub_co_ci_u32 s9, s9, 0
	s_cmp_ge_u32 s9, s13
	s_cselect_b32 s14, -1, 0
	s_cmp_ge_u32 s10, s12
	s_cselect_b32 s10, -1, 0
	s_cmp_eq_u32 s9, s13
	s_cselect_b32 s9, s10, s14
	s_delay_alu instid0(SALU_CYCLE_1) | instskip(SKIP_4) | instid1(SALU_CYCLE_1)
	s_cmp_lg_u32 s9, 0
	s_cselect_b32 s9, s34, s30
	s_cselect_b32 s10, s35, s31
	s_cmp_lg_u32 s7, 0
	s_sub_co_ci_u32 s7, s25, s27
	s_cmp_ge_u32 s7, s13
	s_cselect_b32 s14, -1, 0
	s_cmp_ge_u32 s3, s12
	s_cselect_b32 s3, -1, 0
	s_cmp_eq_u32 s7, s13
	s_cselect_b32 s3, s3, s14
	s_delay_alu instid0(SALU_CYCLE_1) | instskip(SKIP_3) | instid1(SALU_CYCLE_1)
	s_cmp_lg_u32 s3, 0
	s_cselect_b32 s13, s10, s29
	s_cselect_b32 s12, s9, s28
	s_xor_b64 s[22:23], s[22:23], 0
	s_xor_b64 s[12:13], s[12:13], s[22:23]
	s_delay_alu instid0(SALU_CYCLE_1)
	s_sub_nc_u64 s[24:25], s[12:13], s[22:23]
	s_load_b96 s[12:14], s[0:1], 0x44
	s_cbranch_execnz .LBB30_6
.LBB30_5:
	v_cvt_f32_u32_e32 v1, s16
	s_sub_co_i32 s7, 0, s16
	s_delay_alu instid0(VALU_DEP_1) | instskip(SKIP_1) | instid1(TRANS32_DEP_1)
	v_rcp_iflag_f32_e32 v1, v1
	v_nop
	v_mul_f32_e32 v1, 0x4f7ffffe, v1
	s_delay_alu instid0(VALU_DEP_1) | instskip(NEXT) | instid1(VALU_DEP_1)
	v_cvt_u32_f32_e32 v1, v1
	v_readfirstlane_b32 s3, v1
	s_mul_i32 s7, s7, s3
	s_delay_alu instid0(SALU_CYCLE_1) | instskip(NEXT) | instid1(SALU_CYCLE_1)
	s_mul_hi_u32 s7, s3, s7
	s_add_co_i32 s3, s3, s7
	s_delay_alu instid0(SALU_CYCLE_1) | instskip(NEXT) | instid1(SALU_CYCLE_1)
	s_mul_hi_u32 s3, s8, s3
	s_mul_i32 s7, s3, s16
	s_delay_alu instid0(SALU_CYCLE_1)
	s_sub_co_i32 s7, s8, s7
	s_add_co_i32 s8, s3, 1
	s_sub_co_i32 s9, s7, s16
	s_cmp_ge_u32 s7, s16
	s_cselect_b32 s3, s8, s3
	s_cselect_b32 s7, s9, s7
	s_add_co_i32 s8, s3, 1
	s_cmp_ge_u32 s7, s16
	s_cselect_b32 s24, s8, s3
.LBB30_6:
	s_delay_alu instid0(SALU_CYCLE_1)
	s_cmp_eq_u32 s20, s24
	s_mov_b64 s[8:9], 0xffffffff
	s_cselect_b32 s3, -1, 0
	s_and_b64 s[8:9], s[20:21], s[8:9]
	s_mov_b32 s23, 0
	s_wait_kmcnt 0x0
	s_mov_b32 s22, s12
	s_mov_b32 s25, s23
	s_mul_u64 s[10:11], s[8:9], s[22:23]
	s_delay_alu instid0(SALU_CYCLE_1) | instskip(SKIP_2) | instid1(SALU_CYCLE_1)
	s_add_co_i32 s7, s11, s20
	s_mul_u64 s[10:11], s[24:25], s[22:23]
	s_lshr_b32 s12, s7, s13
	s_mul_i32 s7, s12, s14
	s_delay_alu instid0(SALU_CYCLE_1) | instskip(SKIP_2) | instid1(SALU_CYCLE_1)
	s_cmp_eq_u32 s7, s20
	s_cselect_b32 s7, -1, 0
	s_add_co_i32 s10, s11, s24
	s_lshr_b32 s10, s10, s13
	s_delay_alu instid0(SALU_CYCLE_1)
	s_cmp_eq_u32 s12, s10
	s_mul_i32 s10, s10, s14
	s_cselect_b32 s11, -1, 0
	s_cmp_lg_u32 s10, s24
	s_cselect_b32 s10, -1, 0
	s_or_b32 s3, s3, s7
	s_and_b32 s10, s11, s10
	s_delay_alu instid0(SALU_CYCLE_1) | instskip(NEXT) | instid1(SALU_CYCLE_1)
	s_or_b32 s3, s3, s10
	s_and_b32 vcc_lo, exec_lo, s3
	s_cbranch_vccnz .LBB30_24
; %bb.7:
	s_load_b256 s[24:31], s[0:1], 0x20
	s_bfe_u32 s7, ttmp6, 0x40014
	s_bfe_u32 s33, ttmp6, 0x40010
	s_lshr_b32 s3, ttmp7, 16
	s_add_co_i32 s7, s7, 1
	s_and_b32 s21, ttmp7, 0xffff
	s_add_co_i32 s33, s33, 1
	s_bfe_u32 s10, ttmp6, 0x40008
	s_mul_i32 s7, s3, s7
	s_bfe_u32 s34, ttmp6, 0x40004
	s_mul_i32 s33, s21, s33
	s_mov_b32 s11, s23
	s_add_co_i32 s7, s10, s7
	s_add_co_i32 s34, s34, s33
	s_cmp_eq_u32 s15, 0
	s_cselect_b32 s15, s21, s34
	s_cselect_b32 s3, s3, s7
	s_wait_kmcnt 0x0
	s_mov_b32 s10, s24
	s_delay_alu instid0(SALU_CYCLE_1) | instskip(SKIP_2) | instid1(SALU_CYCLE_1)
	s_mul_u64 s[8:9], s[8:9], s[10:11]
	s_load_b32 s8, s[0:1], 0x40
	s_add_co_i32 s7, s9, s20
	s_lshr_b32 s7, s7, s25
	s_delay_alu instid0(SALU_CYCLE_1) | instskip(NEXT) | instid1(SALU_CYCLE_1)
	s_mul_i32 s9, s7, s26
	s_sub_co_i32 s9, s20, s9
	s_delay_alu instid0(SALU_CYCLE_1) | instskip(NEXT) | instid1(SALU_CYCLE_1)
	s_mul_hi_u32 s10, s9, s27
	s_add_co_i32 s10, s9, s10
	s_delay_alu instid0(SALU_CYCLE_1) | instskip(NEXT) | instid1(SALU_CYCLE_1)
	s_lshr_b32 s21, s10, s28
	s_mul_i32 s10, s21, s29
	s_delay_alu instid0(SALU_CYCLE_1) | instskip(NEXT) | instid1(SALU_CYCLE_1)
	s_sub_co_i32 s10, s9, s10
	s_mul_hi_u32 s9, s10, s30
	s_delay_alu instid0(SALU_CYCLE_1) | instskip(NEXT) | instid1(SALU_CYCLE_1)
	s_add_co_i32 s9, s10, s9
	s_lshr_b32 s24, s9, s31
	s_mov_b32 s9, s23
	s_wait_kmcnt 0x0
	s_mul_i32 s8, s24, s8
	s_delay_alu instid0(SALU_CYCLE_1) | instskip(NEXT) | instid1(SALU_CYCLE_1)
	s_sub_co_i32 s8, s10, s8
	s_mul_u64 s[10:11], s[8:9], s[22:23]
	s_delay_alu instid0(SALU_CYCLE_1) | instskip(NEXT) | instid1(SALU_CYCLE_1)
	s_add_co_i32 s8, s8, s11
	s_lshr_b32 s25, s8, s13
	s_delay_alu instid0(SALU_CYCLE_1) | instskip(NEXT) | instid1(SALU_CYCLE_1)
	s_lshl_b32 s8, s25, 1
	s_add_co_i32 s8, s8, s15
	s_delay_alu instid0(SALU_CYCLE_1) | instskip(SKIP_2) | instid1(SALU_CYCLE_1)
	s_cmp_lt_i32 s8, s4
	s_cselect_b32 s8, -1, 0
	s_add_co_i32 s9, s24, s3
	s_cmp_lt_i32 s9, s6
	s_cselect_b32 s9, -1, 0
	s_delay_alu instid0(SALU_CYCLE_1) | instskip(NEXT) | instid1(SALU_CYCLE_1)
	s_and_b32 s8, s8, s9
	s_and_not1_b32 vcc_lo, exec_lo, s8
	s_cbranch_vccnz .LBB30_24
; %bb.8:
	s_mul_i32 s4, s7, s4
	s_load_b128 s[8:11], s[0:1], 0x0
	s_wait_xcnt 0x0
	s_add_co_i32 s0, s4, s15
	s_mul_i32 s21, s21, s6
	s_mul_i32 s0, s0, s5
	;; [unrolled: 1-line block ×3, first 2 shown]
	s_add_co_i32 s0, s0, s3
	s_lshl_b32 s1, s1, 9
	s_add_co_i32 s0, s0, s21
	s_add_co_i32 s15, s15, s3
	;; [unrolled: 1-line block ×3, first 2 shown]
	v_lshl_or_b32 v6, s15, 8, v0
	s_lshl_b32 s0, s0, 8
	v_cvt_f32_u32_e32 v4, s16
	s_add_co_i32 s1, s1, s0
	s_lshl_b32 s24, s16, 3
	v_or_b32_e32 v2, s1, v0
	s_add_nc_u64 s[0:1], s[16:17], 0
	v_rcp_iflag_f32_e32 v4, v4
	s_xor_b64 s[6:7], s[0:1], 0
	s_lshl_b32 s0, s2, 1
	s_cvt_f32_u32 s3, s6
	s_add_co_i32 s0, s0, s15
	s_cvt_f32_u32 s4, s7
	s_ashr_i32 s1, s0, 31
	s_mov_b32 s25, 0
	s_lshl_b64 s[0:1], s[0:1], 3
	s_fmamk_f32 s3, s4, 0x4f800000, s3
	s_wait_kmcnt 0x0
	s_add_nc_u64 s[0:1], s[10:11], s[0:1]
	s_add_co_i32 s36, s2, -1
	s_load_b64 s[28:29], s[0:1], 0x0
	v_s_rcp_f32 s3, s3
	s_wait_xcnt 0x0
	s_lshl_b64 s[0:1], s[24:25], 2
	s_sub_nc_u64 s[34:35], 0, s[6:7]
	s_add_nc_u64 s[26:27], s[10:11], s[0:1]
	v_mul_f32_e32 v4, 0x4f7ffffe, v4
	s_delay_alu instid0(TRANS32_DEP_1) | instskip(NEXT) | instid1(VALU_DEP_1)
	s_mul_f32 s3, s3, 0x5f7ffffc
	v_cvt_u32_f32_e32 v7, v4
	s_delay_alu instid0(SALU_CYCLE_2) | instskip(NEXT) | instid1(SALU_CYCLE_3)
	s_mul_f32 s4, s3, 0x2f800000
	s_trunc_f32 s4, s4
	s_wait_kmcnt 0x0
	v_mov_b32_e32 v0, s29
	global_load_b32 v1, v2, s[8:9] scale_offset
	v_ashrrev_i32_e32 v3, 31, v2
	s_fmamk_f32 s0, s4, 0xcf800000, s3
	s_cvt_u32_f32 s31, s4
	s_wait_xcnt 0x0
	s_delay_alu instid0(VALU_DEP_1)
	v_lshl_add_u64 v[2:3], v[2:3], 2, s[8:9]
	s_cvt_u32_f32 s30, s0
	s_mov_b64 s[8:9], 0xffffffff
.LBB30_9:                               ; =>This Inner Loop Header: Depth=1
	s_ashr_i32 s37, s36, 31
                                        ; implicit-def: $sgpr40_sgpr41
	s_delay_alu instid0(SALU_CYCLE_1) | instskip(NEXT) | instid1(SALU_CYCLE_1)
	s_mul_u64 s[0:1], s[36:37], s[18:19]
	s_and_b64 s[2:3], s[0:1], 0xffffffff00000000
	s_delay_alu instid0(SALU_CYCLE_1)
	s_cmp_lg_u64 s[2:3], 0
	s_mov_b32 s2, -1
	s_cbranch_scc0 .LBB30_11
; %bb.10:                               ;   in Loop: Header=BB30_9 Depth=1
	s_mul_u64 s[2:3], s[34:35], s[30:31]
	s_delay_alu instid0(SALU_CYCLE_1)
	s_mul_hi_u32 s5, s30, s3
	s_mul_i32 s4, s30, s3
	s_mul_hi_u32 s24, s30, s2
	s_mul_hi_u32 s17, s31, s2
	s_add_nc_u64 s[4:5], s[24:25], s[4:5]
	s_mul_i32 s2, s31, s2
	s_mul_hi_u32 s21, s31, s3
	s_add_co_u32 s2, s4, s2
	s_add_co_ci_u32 s24, s5, s17
	s_add_co_ci_u32 s5, s21, 0
	s_mul_i32 s4, s31, s3
	s_delay_alu instid0(SALU_CYCLE_1) | instskip(NEXT) | instid1(SALU_CYCLE_1)
	s_add_nc_u64 s[2:3], s[24:25], s[4:5]
	s_add_co_u32 s2, s30, s2
	s_cselect_b32 s4, -1, 0
	s_delay_alu instid0(SALU_CYCLE_1) | instskip(SKIP_1) | instid1(SALU_CYCLE_1)
	s_cmp_lg_u32 s4, 0
	s_add_co_ci_u32 s3, s31, s3
	s_mul_u64 s[4:5], s[34:35], s[2:3]
	s_delay_alu instid0(SALU_CYCLE_1)
	s_mul_hi_u32 s39, s2, s5
	s_mul_i32 s38, s2, s5
	s_mul_hi_u32 s24, s2, s4
	s_mul_hi_u32 s17, s3, s4
	s_mul_i32 s4, s3, s4
	s_add_nc_u64 s[38:39], s[24:25], s[38:39]
	s_mul_hi_u32 s21, s3, s5
	s_add_co_u32 s4, s38, s4
	s_add_co_ci_u32 s24, s39, s17
	s_mul_i32 s4, s3, s5
	s_add_co_ci_u32 s5, s21, 0
	s_delay_alu instid0(SALU_CYCLE_1) | instskip(NEXT) | instid1(SALU_CYCLE_1)
	s_add_nc_u64 s[4:5], s[24:25], s[4:5]
	s_add_co_u32 s17, s2, s4
	s_cselect_b32 s2, -1, 0
	s_delay_alu instid0(SALU_CYCLE_1) | instskip(SKIP_2) | instid1(SALU_CYCLE_1)
	s_cmp_lg_u32 s2, 0
	s_add_co_ci_u32 s21, s3, s5
	s_ashr_i32 s2, s1, 31
	s_mov_b32 s3, s2
	s_delay_alu instid0(SALU_CYCLE_1) | instskip(NEXT) | instid1(SALU_CYCLE_1)
	s_add_nc_u64 s[4:5], s[0:1], s[2:3]
	s_xor_b64 s[4:5], s[4:5], s[2:3]
	s_delay_alu instid0(SALU_CYCLE_1)
	s_mul_hi_u32 s39, s4, s21
	s_mul_i32 s38, s4, s21
	s_mul_hi_u32 s24, s4, s17
	s_mul_hi_u32 s29, s5, s17
	s_mul_i32 s17, s5, s17
	s_add_nc_u64 s[38:39], s[24:25], s[38:39]
	s_mul_hi_u32 s1, s5, s21
	s_add_co_u32 s17, s38, s17
	s_add_co_ci_u32 s24, s39, s29
	s_mul_i32 s40, s5, s21
	s_add_co_ci_u32 s41, s1, 0
	s_delay_alu instid0(SALU_CYCLE_1) | instskip(NEXT) | instid1(SALU_CYCLE_1)
	s_add_nc_u64 s[38:39], s[24:25], s[40:41]
	s_and_b64 s[40:41], s[38:39], 0xffffffff00000000
	s_delay_alu instid0(SALU_CYCLE_1) | instskip(NEXT) | instid1(SALU_CYCLE_1)
	s_or_b32 s40, s40, s38
	s_mul_u64 s[38:39], s[6:7], s[40:41]
	s_add_nc_u64 s[42:43], s[40:41], 1
	s_sub_co_u32 s1, s4, s38
	s_cselect_b32 s4, -1, 0
	s_sub_co_i32 s17, s5, s39
	s_cmp_lg_u32 s4, 0
	s_add_nc_u64 s[44:45], s[40:41], 2
	s_sub_co_ci_u32 s17, s17, s7
	s_sub_co_u32 s21, s1, s6
	s_cselect_b32 s24, -1, 0
	s_delay_alu instid0(SALU_CYCLE_1) | instskip(SKIP_1) | instid1(SALU_CYCLE_1)
	s_cmp_lg_u32 s24, 0
	s_sub_co_ci_u32 s17, s17, 0
	s_cmp_ge_u32 s17, s7
	s_cselect_b32 s24, -1, 0
	s_cmp_ge_u32 s21, s6
	s_cselect_b32 s21, -1, 0
	s_cmp_eq_u32 s17, s7
	s_cselect_b32 s17, s21, s24
	s_delay_alu instid0(SALU_CYCLE_1) | instskip(SKIP_4) | instid1(SALU_CYCLE_1)
	s_cmp_lg_u32 s17, 0
	s_cselect_b32 s17, s44, s42
	s_cselect_b32 s21, s45, s43
	s_cmp_lg_u32 s4, 0
	s_sub_co_ci_u32 s4, s5, s39
	s_cmp_ge_u32 s4, s7
	s_cselect_b32 s5, -1, 0
	s_cmp_ge_u32 s1, s6
	s_cselect_b32 s1, -1, 0
	s_cmp_eq_u32 s4, s7
	s_cselect_b32 s1, s1, s5
	s_delay_alu instid0(SALU_CYCLE_1) | instskip(SKIP_3) | instid1(SALU_CYCLE_1)
	s_cmp_lg_u32 s1, 0
	s_cselect_b32 s5, s21, s41
	s_cselect_b32 s4, s17, s40
	s_xor_b64 s[2:3], s[2:3], 0
	s_xor_b64 s[4:5], s[4:5], s[2:3]
	s_delay_alu instid0(SALU_CYCLE_1)
	s_sub_nc_u64 s[40:41], s[4:5], s[2:3]
	s_mov_b32 s2, 0
.LBB30_11:                              ;   in Loop: Header=BB30_9 Depth=1
	s_delay_alu instid0(SALU_CYCLE_1)
	s_and_not1_b32 vcc_lo, exec_lo, s2
	s_cbranch_vccnz .LBB30_13
; %bb.12:                               ;   in Loop: Header=BB30_9 Depth=1
	v_readfirstlane_b32 s1, v7
	s_sub_co_i32 s2, 0, s16
	s_delay_alu instid0(SALU_CYCLE_1) | instskip(NEXT) | instid1(SALU_CYCLE_1)
	s_mul_i32 s2, s2, s1
	s_mul_hi_u32 s2, s1, s2
	s_delay_alu instid0(SALU_CYCLE_1) | instskip(NEXT) | instid1(SALU_CYCLE_1)
	s_add_co_i32 s1, s1, s2
	s_mul_hi_u32 s1, s0, s1
	s_delay_alu instid0(SALU_CYCLE_1) | instskip(NEXT) | instid1(SALU_CYCLE_1)
	s_mul_i32 s2, s1, s16
	s_sub_co_i32 s0, s0, s2
	s_add_co_i32 s2, s1, 1
	s_sub_co_i32 s3, s0, s16
	s_cmp_ge_u32 s0, s16
	s_cselect_b32 s1, s2, s1
	s_cselect_b32 s0, s3, s0
	s_add_co_i32 s2, s1, 1
	s_cmp_ge_u32 s0, s16
	s_cselect_b32 s24, s2, s1
	s_delay_alu instid0(SALU_CYCLE_1)
	s_mov_b64 s[40:41], s[24:25]
.LBB30_13:                              ;   in Loop: Header=BB30_9 Depth=1
	s_delay_alu instid0(SALU_CYCLE_1)
	s_cmp_lg_u32 s20, s40
	s_mov_b32 s0, -1
                                        ; implicit-def: $vgpr4_vgpr5
                                        ; implicit-def: $sgpr24
                                        ; implicit-def: $sgpr17
                                        ; implicit-def: $sgpr21
                                        ; implicit-def: $sgpr29
	s_cbranch_scc0 .LBB30_18
; %bb.14:                               ;   in Loop: Header=BB30_9 Depth=1
	s_add_co_i32 s0, s36, s16
	v_max_num_f32_e64 v4, s28, s28
	s_lshl_b32 s0, s0, 1
	s_mov_b32 s29, s20
	s_add_co_i32 s0, s0, s15
	s_load_b64 s[38:39], s[10:11], s0 offset:0x0 scale_offset
	s_wait_xcnt 0x0
	v_readfirstlane_b32 s0, v4
	s_wait_kmcnt 0x0
	v_max_num_f32_e64 v5, s38, s38
	s_delay_alu instid0(VALU_DEP_1) | instskip(SKIP_1) | instid1(SALU_CYCLE_3)
	v_readfirstlane_b32 s1, v5
	s_max_num_f32 s17, s0, s1
	s_sub_f32 s33, s28, s17
	s_sub_f32 s37, s38, s17
	s_delay_alu instid0(SALU_CYCLE_2)
	s_cmp_nlt_f32 s33, 0xc2ce8ed0
	s_cselect_b32 s1, -1, 0
	s_cmp_ngt_f32 s33, 0x42b17218
	s_cselect_b32 s2, -1, 0
	s_cmp_ge_f32 s33, 0xc1a00000
	s_cselect_b32 s0, -1, 0
	s_cmp_nlt_f32 s37, 0xc2ce8ed0
	s_cselect_b32 s3, -1, 0
	s_cmp_ngt_f32 s37, 0x42b17218
	s_cselect_b32 s4, -1, 0
	s_cmp_ge_f32 s37, 0xc1a00000
	s_cselect_b32 s5, -1, 0
	s_and_b64 s[42:43], s[40:41], s[8:9]
	s_delay_alu instid0(SALU_CYCLE_1) | instskip(NEXT) | instid1(SALU_CYCLE_1)
	s_mul_u64 s[42:43], s[42:43], s[22:23]
	s_add_co_i32 s21, s43, s40
	s_delay_alu instid0(SALU_CYCLE_1) | instskip(NEXT) | instid1(SALU_CYCLE_1)
	s_lshr_b32 s21, s21, s13
	s_mul_i32 s24, s21, s14
	s_delay_alu instid0(SALU_CYCLE_1) | instskip(SKIP_3) | instid1(SALU_CYCLE_1)
	s_cmp_eq_u32 s24, s40
	s_cselect_b32 s24, -1, 0
	s_cmp_lt_u32 s21, s12
	s_cselect_b32 s21, -1, 0
	s_or_b32 s21, s21, s24
	s_mov_b32 s24, -1
	s_and_b32 vcc_lo, exec_lo, s21
	s_mov_b32 s21, s36
	s_cbranch_vccnz .LBB30_16
; %bb.15:                               ;   in Loop: Header=BB30_9 Depth=1
	s_add_co_i32 s21, s36, -1
	s_mov_b32 s24, 0
	s_mov_b32 s29, s40
.LBB30_16:                              ;   in Loop: Header=BB30_9 Depth=1
	v_lshl_add_u32 v4, s36, 9, v6
	s_mul_f32 s40, s33, 0x3fb8aa3b
	s_mul_f32 s38, s37, 0x3fb8aa3b
	s_delay_alu instid0(SALU_CYCLE_2)
	s_xor_b32 s42, s40, 0x80000000
	global_load_b32 v5, v4, s[26:27] scale_offset
	s_fmamk_f32 s42, s33, 0x3fb8aa3b, s42
	s_rndne_f32 s44, s40
	s_xor_b32 s41, s38, 0x80000000
	s_rndne_f32 s43, s38
	s_fmamk_f32 s33, s33, 0x32a5705f, s42
	s_sub_f32 s40, s40, s44
	s_fmamk_f32 s41, s37, 0x3fb8aa3b, s41
	s_sub_f32 s38, s38, s43
	s_delay_alu instid0(SALU_CYCLE_1) | instskip(NEXT) | instid1(SALU_CYCLE_1)
	s_add_f32 s33, s40, s33
	s_fmamk_f32 s37, s37, 0x32a5705f, s41
	s_cvt_i32_f32 s40, s44
	s_delay_alu instid0(SALU_CYCLE_1) | instskip(NEXT) | instid1(SALU_CYCLE_1)
	v_s_exp_f32 s33, s33
	s_add_f32 s37, s38, s37
	s_cvt_i32_f32 s38, s43
	s_delay_alu instid0(SALU_CYCLE_2) | instskip(NEXT) | instid1(TRANS32_DEP_2)
	v_s_exp_f32 s37, s37
	v_ldexp_f32 v8, s33, s40
	s_wait_xcnt 0x0
	s_delay_alu instid0(TRANS32_DEP_1) | instskip(NEXT) | instid1(VALU_DEP_2)
	v_ldexp_f32 v4, s37, s38
	v_cndmask_b32_e64 v8, 0, v8, s1
	s_delay_alu instid0(VALU_DEP_1) | instskip(NEXT) | instid1(VALU_DEP_1)
	v_cndmask_b32_e64 v9, 0x7f800000, v8, s2
	v_dual_cndmask_b32 v4, 0, v4, s3 :: v_dual_cndmask_b32 v10, 0, v9, s0
	s_delay_alu instid0(VALU_DEP_1) | instskip(NEXT) | instid1(VALU_DEP_1)
	v_cndmask_b32_e64 v4, 0x7f800000, v4, s4
	v_dual_cndmask_b32 v8, 0, v4, s5 :: v_dual_mov_b32 v4, s39
	s_wait_loadcnt 0x0
	s_delay_alu instid0(VALU_DEP_1) | instskip(NEXT) | instid1(VALU_DEP_1)
	v_pk_mul_f32 v[4:5], v[4:5], v[8:9] op_sel_hi:[1,0]
	v_pk_fma_f32 v[4:5], v[0:1], v[10:11], v[4:5] op_sel_hi:[1,0,1]
	s_cbranch_execz .LBB30_19
.LBB30_17:                              ;   in Loop: Header=BB30_9 Depth=1
	s_and_not1_b32 vcc_lo, exec_lo, s24
	s_cbranch_vccnz .LBB30_20
	s_branch .LBB30_23
.LBB30_18:                              ;   in Loop: Header=BB30_9 Depth=1
	s_and_not1_b32 vcc_lo, exec_lo, s0
	s_cbranch_vccnz .LBB30_17
.LBB30_19:                              ;   in Loop: Header=BB30_9 Depth=1
	s_wait_loadcnt 0x0
	v_mov_b64_e32 v[4:5], v[0:1]
	s_add_co_i32 s21, s36, -1
	s_mov_b32 s29, s20
	s_mov_b32 s17, s28
	s_cbranch_execz .LBB30_23
.LBB30_20:                              ;   in Loop: Header=BB30_9 Depth=1
	s_wait_loadcnt 0x0
	s_delay_alu instid0(VALU_DEP_1)
	v_mov_b64_e32 v[0:1], v[4:5]
	s_mov_b32 s20, s29
	s_mov_b32 s36, s21
	;; [unrolled: 1-line block ×3, first 2 shown]
	s_branch .LBB30_9
.LBB30_21:
                                        ; implicit-def: $sgpr20_sgpr21
	s_branch .LBB30_2
.LBB30_22:
                                        ; implicit-def: $sgpr24_sgpr25
	s_load_b96 s[12:14], s[0:1], 0x44
	s_branch .LBB30_5
.LBB30_23:
	s_delay_alu instid0(VALU_DEP_1) | instskip(SKIP_1) | instid1(VALU_DEP_1)
	v_div_scale_f32 v0, null, v4, v4, v5
	s_wait_loadcnt 0x0
	v_rcp_f32_e32 v1, v0
	v_nop
	s_delay_alu instid0(TRANS32_DEP_1) | instskip(NEXT) | instid1(VALU_DEP_1)
	v_fma_f32 v6, -v0, v1, 1.0
	v_fmac_f32_e32 v1, v6, v1
	v_div_scale_f32 v6, vcc_lo, v5, v4, v5
	s_delay_alu instid0(VALU_DEP_1) | instskip(NEXT) | instid1(VALU_DEP_1)
	v_mul_f32_e32 v7, v6, v1
	v_fma_f32 v8, -v0, v7, v6
	s_delay_alu instid0(VALU_DEP_1) | instskip(NEXT) | instid1(VALU_DEP_1)
	v_fmac_f32_e32 v7, v8, v1
	v_fma_f32 v0, -v0, v7, v6
	s_delay_alu instid0(VALU_DEP_1) | instskip(NEXT) | instid1(VALU_DEP_1)
	v_div_fmas_f32 v0, v0, v1, v7
	v_div_fixup_f32 v0, v0, v4, v5
	global_store_b32 v[2:3], v0, off
.LBB30_24:
	s_endpgm
	.section	.rodata,"a",@progbits
	.p2align	6, 0x0
	.amdhsa_kernel _ZL33flash_attn_stream_k_fixup_generalILi256ELi2ELi1EEvPfPK15HIP_vector_typeIfLj2EEiiiiS1_IjLj3EES5_S5_S5_
		.amdhsa_group_segment_fixed_size 0
		.amdhsa_private_segment_fixed_size 0
		.amdhsa_kernarg_size 336
		.amdhsa_user_sgpr_count 2
		.amdhsa_user_sgpr_dispatch_ptr 0
		.amdhsa_user_sgpr_queue_ptr 0
		.amdhsa_user_sgpr_kernarg_segment_ptr 1
		.amdhsa_user_sgpr_dispatch_id 0
		.amdhsa_user_sgpr_kernarg_preload_length 0
		.amdhsa_user_sgpr_kernarg_preload_offset 0
		.amdhsa_user_sgpr_private_segment_size 0
		.amdhsa_wavefront_size32 1
		.amdhsa_uses_dynamic_stack 0
		.amdhsa_enable_private_segment 0
		.amdhsa_system_sgpr_workgroup_id_x 1
		.amdhsa_system_sgpr_workgroup_id_y 1
		.amdhsa_system_sgpr_workgroup_id_z 1
		.amdhsa_system_sgpr_workgroup_info 0
		.amdhsa_system_vgpr_workitem_id 0
		.amdhsa_next_free_vgpr 12
		.amdhsa_next_free_sgpr 46
		.amdhsa_named_barrier_count 0
		.amdhsa_reserve_vcc 1
		.amdhsa_float_round_mode_32 0
		.amdhsa_float_round_mode_16_64 0
		.amdhsa_float_denorm_mode_32 3
		.amdhsa_float_denorm_mode_16_64 3
		.amdhsa_fp16_overflow 0
		.amdhsa_memory_ordered 1
		.amdhsa_forward_progress 1
		.amdhsa_inst_pref_size 27
		.amdhsa_round_robin_scheduling 0
		.amdhsa_exception_fp_ieee_invalid_op 0
		.amdhsa_exception_fp_denorm_src 0
		.amdhsa_exception_fp_ieee_div_zero 0
		.amdhsa_exception_fp_ieee_overflow 0
		.amdhsa_exception_fp_ieee_underflow 0
		.amdhsa_exception_fp_ieee_inexact 0
		.amdhsa_exception_int_div_zero 0
	.end_amdhsa_kernel
	.section	.text._ZL33flash_attn_stream_k_fixup_generalILi256ELi2ELi1EEvPfPK15HIP_vector_typeIfLj2EEiiiiS1_IjLj3EES5_S5_S5_,"axG",@progbits,_ZL33flash_attn_stream_k_fixup_generalILi256ELi2ELi1EEvPfPK15HIP_vector_typeIfLj2EEiiiiS1_IjLj3EES5_S5_S5_,comdat
.Lfunc_end30:
	.size	_ZL33flash_attn_stream_k_fixup_generalILi256ELi2ELi1EEvPfPK15HIP_vector_typeIfLj2EEiiiiS1_IjLj3EES5_S5_S5_, .Lfunc_end30-_ZL33flash_attn_stream_k_fixup_generalILi256ELi2ELi1EEvPfPK15HIP_vector_typeIfLj2EEiiiiS1_IjLj3EES5_S5_S5_
                                        ; -- End function
	.set _ZL33flash_attn_stream_k_fixup_generalILi256ELi2ELi1EEvPfPK15HIP_vector_typeIfLj2EEiiiiS1_IjLj3EES5_S5_S5_.num_vgpr, 12
	.set _ZL33flash_attn_stream_k_fixup_generalILi256ELi2ELi1EEvPfPK15HIP_vector_typeIfLj2EEiiiiS1_IjLj3EES5_S5_S5_.num_agpr, 0
	.set _ZL33flash_attn_stream_k_fixup_generalILi256ELi2ELi1EEvPfPK15HIP_vector_typeIfLj2EEiiiiS1_IjLj3EES5_S5_S5_.numbered_sgpr, 46
	.set _ZL33flash_attn_stream_k_fixup_generalILi256ELi2ELi1EEvPfPK15HIP_vector_typeIfLj2EEiiiiS1_IjLj3EES5_S5_S5_.num_named_barrier, 0
	.set _ZL33flash_attn_stream_k_fixup_generalILi256ELi2ELi1EEvPfPK15HIP_vector_typeIfLj2EEiiiiS1_IjLj3EES5_S5_S5_.private_seg_size, 0
	.set _ZL33flash_attn_stream_k_fixup_generalILi256ELi2ELi1EEvPfPK15HIP_vector_typeIfLj2EEiiiiS1_IjLj3EES5_S5_S5_.uses_vcc, 1
	.set _ZL33flash_attn_stream_k_fixup_generalILi256ELi2ELi1EEvPfPK15HIP_vector_typeIfLj2EEiiiiS1_IjLj3EES5_S5_S5_.uses_flat_scratch, 0
	.set _ZL33flash_attn_stream_k_fixup_generalILi256ELi2ELi1EEvPfPK15HIP_vector_typeIfLj2EEiiiiS1_IjLj3EES5_S5_S5_.has_dyn_sized_stack, 0
	.set _ZL33flash_attn_stream_k_fixup_generalILi256ELi2ELi1EEvPfPK15HIP_vector_typeIfLj2EEiiiiS1_IjLj3EES5_S5_S5_.has_recursion, 0
	.set _ZL33flash_attn_stream_k_fixup_generalILi256ELi2ELi1EEvPfPK15HIP_vector_typeIfLj2EEiiiiS1_IjLj3EES5_S5_S5_.has_indirect_call, 0
	.section	.AMDGPU.csdata,"",@progbits
; Kernel info:
; codeLenInByte = 3352
; TotalNumSgprs: 48
; NumVgprs: 12
; ScratchSize: 0
; MemoryBound: 0
; FloatMode: 240
; IeeeMode: 1
; LDSByteSize: 0 bytes/workgroup (compile time only)
; SGPRBlocks: 0
; VGPRBlocks: 0
; NumSGPRsForWavesPerEU: 48
; NumVGPRsForWavesPerEU: 12
; NamedBarCnt: 0
; Occupancy: 16
; WaveLimiterHint : 0
; COMPUTE_PGM_RSRC2:SCRATCH_EN: 0
; COMPUTE_PGM_RSRC2:USER_SGPR: 2
; COMPUTE_PGM_RSRC2:TRAP_HANDLER: 0
; COMPUTE_PGM_RSRC2:TGID_X_EN: 1
; COMPUTE_PGM_RSRC2:TGID_Y_EN: 1
; COMPUTE_PGM_RSRC2:TGID_Z_EN: 1
; COMPUTE_PGM_RSRC2:TIDIG_COMP_CNT: 0
	.section	.text._ZL18flash_attn_ext_vecILi256ELi2EL9ggml_type1ELS0_1ELb1EEvPKcS2_S2_S2_S2_PKiPfP15HIP_vector_typeIfLj2EEffffjfiS6_IjLj3EEiiiiiiiiiiiliiliiiiil,"axG",@progbits,_ZL18flash_attn_ext_vecILi256ELi2EL9ggml_type1ELS0_1ELb1EEvPKcS2_S2_S2_S2_PKiPfP15HIP_vector_typeIfLj2EEffffjfiS6_IjLj3EEiiiiiiiiiiiliiliiiiil,comdat
	.globl	_ZL18flash_attn_ext_vecILi256ELi2EL9ggml_type1ELS0_1ELb1EEvPKcS2_S2_S2_S2_PKiPfP15HIP_vector_typeIfLj2EEffffjfiS6_IjLj3EEiiiiiiiiiiiliiliiiiil ; -- Begin function _ZL18flash_attn_ext_vecILi256ELi2EL9ggml_type1ELS0_1ELb1EEvPKcS2_S2_S2_S2_PKiPfP15HIP_vector_typeIfLj2EEffffjfiS6_IjLj3EEiiiiiiiiiiiliiliiiiil
	.p2align	8
	.type	_ZL18flash_attn_ext_vecILi256ELi2EL9ggml_type1ELS0_1ELb1EEvPKcS2_S2_S2_S2_PKiPfP15HIP_vector_typeIfLj2EEffffjfiS6_IjLj3EEiiiiiiiiiiiliiliiiiil,@function
_ZL18flash_attn_ext_vecILi256ELi2EL9ggml_type1ELS0_1ELb1EEvPKcS2_S2_S2_S2_PKiPfP15HIP_vector_typeIfLj2EEffffjfiS6_IjLj3EEiiiiiiiiiiiliiliiiiil: ; @_ZL18flash_attn_ext_vecILi256ELi2EL9ggml_type1ELS0_1ELb1EEvPKcS2_S2_S2_S2_PKiPfP15HIP_vector_typeIfLj2EEffffjfiS6_IjLj3EEiiiiiiiiiiiliiliiiiil
; %bb.0:
	s_clause 0x2
	s_load_b64 s[34:35], s[0:1], 0x64
	s_load_b64 s[40:41], s[0:1], 0x80
	;; [unrolled: 1-line block ×3, first 2 shown]
	s_bfe_u32 s6, ttmp6, 0x40014
	s_lshr_b32 s5, ttmp7, 16
	s_add_co_i32 s6, s6, 1
	s_bfe_u32 s7, ttmp6, 0x40008
	s_mul_i32 s6, s5, s6
	s_getreg_b32 s37, hwreg(HW_REG_IB_STS2, 6, 4)
	s_add_co_i32 s7, s7, s6
	s_clause 0x1
	s_load_b128 s[20:23], s[0:1], 0x40
	s_load_b64 s[30:31], s[0:1], 0x50
	v_mov_b32_e32 v64, 1.0
	s_mov_b32 s24, 0
	s_wait_kmcnt 0x0
	s_cvt_f32_u32 s4, s35
	s_sub_co_i32 s8, 0, s35
	s_delay_alu instid0(SALU_CYCLE_2) | instskip(SKIP_1) | instid1(TRANS32_DEP_1)
	v_rcp_iflag_f32_e32 v1, s4
	v_nop
	v_readfirstlane_b32 s4, v1
	s_mul_f32 s4, s4, 0x4f7ffffe
	s_delay_alu instid0(SALU_CYCLE_3) | instskip(NEXT) | instid1(SALU_CYCLE_3)
	s_cvt_u32_f32 s4, s4
	s_mul_i32 s8, s8, s4
	s_delay_alu instid0(SALU_CYCLE_1) | instskip(NEXT) | instid1(SALU_CYCLE_1)
	s_mul_hi_u32 s8, s4, s8
	s_add_co_i32 s4, s4, s8
	s_cmp_eq_u32 s37, 0
	s_cselect_b32 s5, s5, s7
	s_delay_alu instid0(SALU_CYCLE_1) | instskip(NEXT) | instid1(SALU_CYCLE_1)
	s_mul_hi_u32 s4, s5, s4
	s_mul_i32 s6, s4, s35
	s_add_co_i32 s7, s4, 1
	s_sub_co_i32 s6, s5, s6
	s_delay_alu instid0(SALU_CYCLE_1)
	s_sub_co_i32 s8, s6, s35
	s_cmp_ge_u32 s6, s35
	s_cselect_b32 s4, s7, s4
	s_cselect_b32 s6, s8, s6
	s_add_co_i32 s7, s4, 1
	s_cmp_ge_u32 s6, s35
	s_cselect_b32 s36, s7, s4
	s_abs_i32 s4, s41
	s_abs_i32 s9, s35
	s_cvt_f32_u32 s6, s4
	s_sub_co_i32 s7, 0, s4
	s_xor_b32 s8, s35, s41
	s_delay_alu instid0(SALU_CYCLE_1) | instskip(SKIP_2) | instid1(TRANS32_DEP_1)
	v_rcp_iflag_f32_e32 v1, s6
	s_ashr_i32 s8, s8, 31
	v_nop
	v_readfirstlane_b32 s6, v1
	s_mul_f32 s6, s6, 0x4f7ffffe
	s_delay_alu instid0(SALU_CYCLE_3) | instskip(NEXT) | instid1(SALU_CYCLE_3)
	s_cvt_u32_f32 s6, s6
	s_mul_i32 s7, s7, s6
	s_delay_alu instid0(SALU_CYCLE_1) | instskip(NEXT) | instid1(SALU_CYCLE_1)
	s_mul_hi_u32 s7, s6, s7
	s_add_co_i32 s6, s6, s7
	s_mul_i32 s7, s36, s35
	s_mul_hi_u32 s6, s9, s6
	s_sub_co_i32 s33, s5, s7
	s_mul_i32 s10, s6, s4
	s_add_co_i32 s7, s6, 1
	s_sub_co_i32 s5, s9, s10
	s_delay_alu instid0(SALU_CYCLE_1)
	s_sub_co_i32 s9, s5, s4
	s_cmp_ge_u32 s5, s4
	s_cselect_b32 s6, s7, s6
	s_cselect_b32 s5, s9, s5
	s_add_co_i32 s7, s6, 1
	s_cmp_ge_u32 s5, s4
	s_cselect_b32 s4, s7, s6
	s_abs_i32 s2, s2
	s_xor_b32 s4, s4, s8
	s_delay_alu instid0(SALU_CYCLE_1)
	s_sub_co_i32 s39, s4, s8
	s_cvt_f32_u32 s4, s2
	s_abs_i32 s38, s39
	s_cmp_le_f32 s21, 0
	s_cvt_f32_u32 s5, s38
	v_rcp_iflag_f32_e32 v1, s4
	s_delay_alu instid0(SALU_CYCLE_2) | instskip(NEXT) | instid1(TRANS32_DEP_2)
	v_rcp_iflag_f32_e32 v2, s5
	v_readfirstlane_b32 s21, v1
	s_delay_alu instid0(TRANS32_DEP_1)
	v_readfirstlane_b32 s41, v2
	s_cbranch_scc1 .LBB31_2
; %bb.1:
	v_sub_co_u32 v1, s4, s33, s30
	s_and_b32 s6, s4, exec_lo
	s_cselect_b32 s6, s22, s23
	s_add_co_i32 s7, s33, 1
	v_readfirstlane_b32 s5, v1
	s_lshl_b32 s5, s5, 1
	s_delay_alu instid0(SALU_CYCLE_1) | instskip(SKIP_4) | instid1(SALU_CYCLE_3)
	s_or_b32 s5, s5, 1
	s_and_b32 s4, s4, exec_lo
	s_cselect_b32 s4, s7, s5
	s_cmp_neq_f32 s6, 1.0
	s_cvt_f32_i32 s4, s4
	s_cselect_b32 s5, s4, 1.0
	s_delay_alu instid0(SALU_CYCLE_1) | instskip(SKIP_1) | instid1(SALU_CYCLE_1)
	s_cmp_neq_f32 s5, 0
	s_cselect_b32 s4, s6, 1.0
	v_cvt_f64_f32_e64 v[2:3], |s4|
	s_delay_alu instid0(VALU_DEP_1) | instskip(SKIP_1) | instid1(VALU_DEP_1)
	v_frexp_exp_i32_f64_e32 v1, v[2:3]
	v_frexp_mant_f32_e64 v2, |s4|
	v_readfirstlane_b32 s6, v2
	s_cmp_lt_f32 s6, 0x3f2aaaab
	s_cselect_b32 vcc_lo, -1, 0
	s_delay_alu instid0(SALU_CYCLE_1) | instskip(SKIP_1) | instid1(SALU_CYCLE_1)
	s_and_b32 s7, vcc_lo, exec_lo
	s_cselect_b32 s7, 2.0, 1.0
	s_mul_f32 s6, s6, s7
	s_delay_alu instid0(SALU_CYCLE_3) | instskip(SKIP_1) | instid1(SALU_CYCLE_2)
	s_add_f32 s7, s6, 1.0
	s_add_f32 s9, s6, -1.0
	v_s_rcp_f32 s8, s7
	s_add_f32 s12, s7, -1.0
	v_subrev_co_ci_u32_e64 v1, null, 0, v1, vcc_lo
	s_delay_alu instid0(SALU_CYCLE_2) | instskip(NEXT) | instid1(TRANS32_DEP_1)
	s_sub_f32 s6, s6, s12
	s_mul_f32 s10, s9, s8
	v_cvt_f32_i32_e32 v1, v1
	s_delay_alu instid0(SALU_CYCLE_2) | instskip(NEXT) | instid1(SALU_CYCLE_3)
	s_mul_f32 s11, s7, s10
	v_dual_mov_b32 v3, s9 :: v_dual_mov_b32 v4, s11
	s_xor_b32 s13, s11, 0x80000000
	s_delay_alu instid0(SALU_CYCLE_1) | instskip(NEXT) | instid1(SALU_CYCLE_3)
	s_fmac_f32 s13, s10, s7
	s_fmac_f32 s13, s10, s6
	s_delay_alu instid0(SALU_CYCLE_3) | instskip(SKIP_2) | instid1(SALU_CYCLE_1)
	s_add_f32 s6, s11, s13
	v_mov_b32_e32 v6, s13
	s_mov_b32 s11, 0x3e76c4e1
	s_sub_f32 s7, s9, s6
	v_dual_mov_b32 v2, s6 :: v_dual_mov_b32 v7, s6
	s_delay_alu instid0(SALU_CYCLE_2) | instskip(NEXT) | instid1(VALU_DEP_1)
	v_mov_b32_e32 v5, s7
	v_pk_add_f32 v[2:3], v[2:3], v[4:5] neg_lo:[0,1] neg_hi:[0,1]
	s_delay_alu instid0(VALU_DEP_1) | instskip(NEXT) | instid1(VALU_DEP_1)
	v_pk_add_f32 v[2:3], v[2:3], v[6:7] neg_lo:[0,1] neg_hi:[0,1]
	v_readfirstlane_b32 s6, v3
	s_delay_alu instid0(VALU_DEP_2) | instskip(SKIP_1) | instid1(SALU_CYCLE_3)
	v_readfirstlane_b32 s9, v2
	s_add_f32 s6, s9, s6
	s_add_f32 s6, s7, s6
	s_delay_alu instid0(SALU_CYCLE_3) | instskip(NEXT) | instid1(SALU_CYCLE_3)
	s_mul_f32 s7, s8, s6
	s_add_f32 s6, s10, s7
	s_delay_alu instid0(SALU_CYCLE_3) | instskip(SKIP_1) | instid1(SALU_CYCLE_2)
	s_sub_f32 s8, s6, s10
	s_mul_f32 s9, s6, s6
	s_sub_f32 s10, s7, s8
	s_delay_alu instid0(SALU_CYCLE_2) | instskip(NEXT) | instid1(SALU_CYCLE_1)
	s_xor_b32 s7, s9, 0x80000000
	s_fmac_f32 s7, s6, s6
	s_delay_alu instid0(SALU_CYCLE_1) | instskip(NEXT) | instid1(SALU_CYCLE_3)
	s_add_f32 s8, s10, s10
	s_fmac_f32 s7, s6, s8
	s_delay_alu instid0(SALU_CYCLE_3) | instskip(NEXT) | instid1(SALU_CYCLE_3)
	s_add_f32 s8, s9, s7
	s_fmaak_f32 s11, s8, s11, 0x3e91f4c4
	s_sub_f32 s9, s8, s9
	s_delay_alu instid0(SALU_CYCLE_2) | instskip(NEXT) | instid1(SALU_CYCLE_2)
	s_fmaak_f32 s11, s8, s11, 0x3ecccdef
	s_sub_f32 s14, s7, s9
	s_delay_alu instid0(SALU_CYCLE_2) | instskip(NEXT) | instid1(SALU_CYCLE_3)
	s_mul_f32 s12, s8, s11
	s_xor_b32 s13, s12, 0x80000000
	s_delay_alu instid0(SALU_CYCLE_1) | instskip(NEXT) | instid1(SALU_CYCLE_3)
	s_fmac_f32 s13, s8, s11
	s_fmac_f32 s13, s14, s11
	s_delay_alu instid0(SALU_CYCLE_3) | instskip(NEXT) | instid1(SALU_CYCLE_3)
	s_add_f32 s9, s12, s13
	s_sub_f32 s7, s9, s12
	s_add_f32 s11, s9, 0x3f2aaaaa
	s_delay_alu instid0(SALU_CYCLE_2) | instskip(NEXT) | instid1(SALU_CYCLE_2)
	s_sub_f32 s7, s13, s7
	s_add_f32 s12, s11, 0xbf2aaaaa
	s_delay_alu instid0(SALU_CYCLE_2) | instskip(NEXT) | instid1(SALU_CYCLE_2)
	s_add_f32 s7, s7, 0x31739010
	s_sub_f32 s9, s9, s12
	s_delay_alu instid0(SALU_CYCLE_2) | instskip(NEXT) | instid1(SALU_CYCLE_2)
	v_mov_b64_e32 v[2:3], s[6:7]
	v_mov_b64_e32 v[4:5], s[8:9]
	s_delay_alu instid0(VALU_DEP_1) | instskip(SKIP_2) | instid1(VALU_DEP_3)
	v_pk_mul_f32 v[6:7], v[2:3], v[4:5]
	v_pk_add_f32 v[2:3], v[2:3], v[4:5]
	v_mov_b32_e32 v9, s11
	v_xor_b32_e32 v8, 0x80000000, v6
	s_delay_alu instid0(VALU_DEP_3) | instskip(NEXT) | instid1(VALU_DEP_2)
	v_mov_b32_e32 v7, v3
	v_fmac_f32_e64 v8, s8, s6
	s_delay_alu instid0(VALU_DEP_1) | instskip(NEXT) | instid1(VALU_DEP_1)
	v_fmac_f32_e64 v8, s8, s10
	v_fmac_f32_e64 v8, s14, s6
	s_delay_alu instid0(VALU_DEP_1) | instskip(NEXT) | instid1(VALU_DEP_1)
	v_pk_add_f32 v[4:5], v[6:7], v[8:9]
	v_dual_mov_b32 v2, v5 :: v_dual_sub_f32 v7, s11, v5
	v_mul_f32_e32 v12, 0x3f317218, v1
	s_delay_alu instid0(VALU_DEP_2) | instskip(NEXT) | instid1(VALU_DEP_3)
	v_pk_mul_f32 v[10:11], v[4:5], v[2:3]
	v_add_f32_e32 v3, v3, v7
	s_delay_alu instid0(VALU_DEP_3) | instskip(NEXT) | instid1(VALU_DEP_3)
	v_xor_b32_e32 v7, 0x80000000, v12
	v_xor_b32_e32 v2, 0x80000000, v10
	s_delay_alu instid0(VALU_DEP_2) | instskip(NEXT) | instid1(VALU_DEP_2)
	v_dual_sub_f32 v6, v4, v6 :: v_dual_fmac_f32 v7, 0x3f317218, v1
	v_fmac_f32_e32 v2, v4, v5
	s_delay_alu instid0(VALU_DEP_2) | instskip(NEXT) | instid1(VALU_DEP_2)
	v_sub_f32_e32 v6, v8, v6
	v_fmac_f32_e32 v2, v4, v3
	s_delay_alu instid0(VALU_DEP_1) | instskip(SKIP_3) | instid1(VALU_DEP_2)
	v_fmac_f32_e32 v2, v6, v5
	v_fmamk_f32 v4, v1, 0xb102e308, v7
	v_ldexp_f32 v5, s6, 1
	v_ldexp_f32 v1, s10, 1
	v_dual_add_f32 v13, v10, v2 :: v_dual_mov_b32 v11, v5
	s_delay_alu instid0(VALU_DEP_1) | instskip(SKIP_1) | instid1(VALU_DEP_2)
	v_pk_add_f32 v[6:7], v[12:13], v[4:5]
	v_dual_mov_b32 v8, v13 :: v_dual_mov_b32 v3, v13
	v_dual_mov_b32 v9, v7 :: v_dual_mov_b32 v5, v6
	v_mov_b32_e32 v14, v7
	s_delay_alu instid0(VALU_DEP_2) | instskip(NEXT) | instid1(VALU_DEP_1)
	v_pk_add_f32 v[8:9], v[8:9], v[10:11] neg_lo:[0,1] neg_hi:[0,1]
	v_pk_add_f32 v[2:3], v[2:3], v[8:9] neg_lo:[0,1] neg_hi:[0,1]
	s_delay_alu instid0(VALU_DEP_1) | instskip(NEXT) | instid1(VALU_DEP_1)
	v_add_f32_e32 v1, v1, v2
	v_add_f32_e32 v13, v1, v3
	s_delay_alu instid0(VALU_DEP_1) | instskip(SKIP_1) | instid1(VALU_DEP_2)
	v_pk_add_f32 v[2:3], v[6:7], v[12:13]
	v_pk_add_f32 v[8:9], v[6:7], v[12:13] neg_lo:[0,1] neg_hi:[0,1]
	v_mov_b32_e32 v9, v3
	s_delay_alu instid0(VALU_DEP_1) | instskip(SKIP_2) | instid1(VALU_DEP_3)
	v_pk_add_f32 v[10:11], v[4:5], v[8:9]
	v_pk_add_f32 v[4:5], v[4:5], v[8:9] neg_lo:[0,1] neg_hi:[0,1]
	v_dual_mov_b32 v16, v3 :: v_dual_mov_b32 v5, v6
	v_dual_mov_b32 v12, v11 :: v_dual_mov_b32 v17, v11
	s_delay_alu instid0(VALU_DEP_3) | instskip(NEXT) | instid1(VALU_DEP_2)
	v_readfirstlane_b32 s6, v4
	v_pk_add_f32 v[8:9], v[12:13], v[6:7] neg_lo:[0,1] neg_hi:[0,1]
	s_delay_alu instid0(VALU_DEP_2) | instskip(NEXT) | instid1(VALU_DEP_2)
	v_dual_mov_b32 v4, v13 :: v_dual_mov_b32 v10, s6
	v_dual_mov_b32 v15, v8 :: v_dual_mov_b32 v1, v8
	s_delay_alu instid0(VALU_DEP_1) | instskip(NEXT) | instid1(VALU_DEP_2)
	v_pk_add_f32 v[6:7], v[16:17], v[14:15] neg_lo:[0,1] neg_hi:[0,1]
	v_pk_add_f32 v[2:3], v[2:3], v[0:1] neg_lo:[0,1] neg_hi:[0,1]
	v_mov_b32_e32 v2, s6
	s_delay_alu instid0(VALU_DEP_3) | instskip(NEXT) | instid1(VALU_DEP_1)
	v_pk_add_f32 v[4:5], v[4:5], v[6:7] neg_lo:[0,1] neg_hi:[0,1]
	v_pk_add_f32 v[2:3], v[2:3], v[4:5]
	s_delay_alu instid0(VALU_DEP_1) | instskip(NEXT) | instid1(VALU_DEP_2)
	v_readfirstlane_b32 s7, v2
	v_mov_b32_e32 v6, v3
	s_delay_alu instid0(VALU_DEP_1) | instskip(NEXT) | instid1(VALU_DEP_3)
	v_pk_add_f32 v[6:7], v[2:3], v[6:7]
	v_mov_b32_e32 v2, s7
	s_delay_alu instid0(VALU_DEP_2) | instskip(SKIP_1) | instid1(VALU_DEP_2)
	v_pk_add_f32 v[8:9], v[12:13], v[6:7]
	v_mov_b32_e32 v5, v6
	v_readfirstlane_b32 s8, v8
	s_delay_alu instid0(VALU_DEP_1) | instskip(NEXT) | instid1(VALU_DEP_1)
	v_mov_b32_e32 v3, s8
	v_pk_add_f32 v[2:3], v[2:3], v[10:11] neg_lo:[0,1] neg_hi:[0,1]
	s_delay_alu instid0(VALU_DEP_1) | instskip(NEXT) | instid1(VALU_DEP_2)
	v_readfirstlane_b32 s9, v2
	v_pk_add_f32 v[2:3], v[4:5], v[2:3] neg_lo:[0,1] neg_hi:[0,1]
	s_sub_f32 s7, s7, s9
	s_delay_alu instid0(VALU_DEP_1) | instskip(NEXT) | instid1(SALU_CYCLE_2)
	v_readfirstlane_b32 s9, v2
	s_sub_f32 s6, s6, s7
	v_readfirstlane_b32 s7, v3
	s_delay_alu instid0(SALU_CYCLE_2) | instskip(NEXT) | instid1(SALU_CYCLE_3)
	s_add_f32 s6, s9, s6
	s_add_f32 s6, s6, s7
	s_delay_alu instid0(SALU_CYCLE_3) | instskip(NEXT) | instid1(SALU_CYCLE_3)
	s_add_f32 s7, s8, s6
	s_mul_f32 s9, s5, s7
	s_sub_f32 s8, s7, s8
	s_delay_alu instid0(SALU_CYCLE_2) | instskip(NEXT) | instid1(SALU_CYCLE_2)
	s_xor_b32 s10, s9, 0x80000000
	s_sub_f32 s6, s6, s8
	s_fmac_f32 s10, s5, s7
	s_delay_alu instid0(SALU_CYCLE_3) | instskip(SKIP_1) | instid1(SALU_CYCLE_2)
	s_fmac_f32 s10, s5, s6
	v_cmp_class_f32_e64 s6, s9, 0x204
	s_add_f32 s7, s9, s10
	s_and_b32 s6, s6, exec_lo
	s_delay_alu instid0(SALU_CYCLE_2) | instskip(SKIP_1) | instid1(SALU_CYCLE_1)
	s_sub_f32 s6, s7, s9
	s_cselect_b32 s7, s9, s7
	s_and_b32 s8, s7, 0x7fffffff
	s_delay_alu instid0(SALU_CYCLE_1) | instskip(SKIP_1) | instid1(SALU_CYCLE_2)
	s_sub_f32 s6, s10, s6
	s_cmp_neq_f32 s8, 0x7f800000
	s_cselect_b32 s6, s6, 0
	s_cmp_eq_f32 s7, 0x42b17218
	s_cselect_b32 s8, 0x37000000, 0
	s_delay_alu instid0(SALU_CYCLE_1) | instskip(SKIP_1) | instid1(SALU_CYCLE_2)
	s_sub_f32 s7, s7, s8
	s_add_f32 s6, s8, s6
	s_mul_f32 s9, s7, 0x3fb8aa3b
	s_delay_alu instid0(SALU_CYCLE_3) | instskip(SKIP_3) | instid1(SALU_CYCLE_1)
	s_xor_b32 s10, s9, 0x80000000
	s_rndne_f32 s11, s9
	s_fmamk_f32 s10, s7, 0x3fb8aa3b, s10
	s_cmp_nlt_f32 s7, 0xc2ce8ed0
	s_sub_f32 s9, s9, s11
	s_delay_alu instid0(SALU_CYCLE_1)
	s_fmamk_f32 s10, s7, 0x32a5705f, s10
	s_cselect_b32 vcc_lo, -1, 0
	s_cmp_ngt_f32 s7, 0x42b17218
	s_trunc_f32 s7, s5
	s_add_f32 s9, s9, s10
	s_cvt_i32_f32 s10, s11
	s_delay_alu instid0(SALU_CYCLE_2)
	v_s_exp_f32 s9, s9
	v_nop
	s_delay_alu instid0(TRANS32_DEP_1) | instid1(SALU_CYCLE_1)
	v_ldexp_f32 v1, s9, s10
	s_mul_f32 s9, s5, 0.5
	s_delay_alu instid0(VALU_DEP_1) | instskip(SKIP_3) | instid1(VALU_DEP_1)
	v_cndmask_b32_e32 v1, 0, v1, vcc_lo
	s_cselect_b32 vcc_lo, -1, 0
	s_cmp_eq_f32 s7, s5
	s_trunc_f32 s10, s9
	v_cndmask_b32_e32 v1, 0x7f800000, v1, vcc_lo
	s_cselect_b32 s11, -1, 0
	s_delay_alu instid0(SALU_CYCLE_1) | instskip(NEXT) | instid1(VALU_DEP_1)
	s_cmp_neq_f32 s10, s9
	v_fma_f32 v2, s6, v1, v1
	v_cmp_class_f32_e64 vcc_lo, v1, 0x204
	s_cselect_b32 s8, -1, 0
	s_delay_alu instid0(SALU_CYCLE_1)
	s_and_b32 s6, s11, s8
	v_cndmask_b32_e32 v1, v2, v1, vcc_lo
	s_and_b32 s8, s6, exec_lo
	s_cselect_b32 s8, s4, 1.0
	s_cmp_eq_f32 s7, s5
	v_cmp_class_f32_e64 s7, s4, 0x204
	v_bfi_b32 v1, 0x7fffffff, v1, s8
	s_cselect_b32 vcc_lo, -1, 0
	s_cmp_lt_f32 s4, 0
	s_delay_alu instid0(VALU_DEP_1) | instskip(SKIP_2) | instid1(VALU_DEP_1)
	v_cndmask_b32_e32 v2, 0x7fc00000, v1, vcc_lo
	s_cselect_b32 vcc_lo, -1, 0
	s_cmp_eq_f32 s4, 0
	v_cndmask_b32_e32 v1, v1, v2, vcc_lo
	s_cselect_b32 s8, -1, 0
	s_delay_alu instid0(SALU_CYCLE_1) | instskip(SKIP_2) | instid1(SALU_CYCLE_1)
	s_or_b32 vcc_lo, s8, s7
	s_cmp_lt_f32 s5, 0
	s_cselect_b32 s5, -1, 0
	s_xor_b32 s5, s5, s8
	s_delay_alu instid0(SALU_CYCLE_1)
	s_and_b32 s5, s5, exec_lo
	s_cselect_b32 s5, 0, 0x7f800000
	s_and_b32 s6, s6, exec_lo
	s_cselect_b32 s6, s4, 0
	s_cmp_o_f32 s4, s4
	v_mov_b32_e32 v2, s6
	s_delay_alu instid0(VALU_DEP_1) | instskip(NEXT) | instid1(VALU_DEP_1)
	v_bfi_b32 v2, 0x7fffffff, s5, v2
	v_cndmask_b32_e32 v1, v1, v2, vcc_lo
	s_cselect_b32 vcc_lo, -1, 0
	s_delay_alu instid0(VALU_DEP_1)
	v_cndmask_b32_e32 v64, 0x7fc00000, v1, vcc_lo
.LBB31_2:
	s_clause 0x1
	s_load_b96 s[28:30], s[0:1], 0x70
	s_load_b512 s[4:19], s[0:1], 0x0
	s_bfe_u32 s23, ttmp6, 0x4000c
	s_and_b32 s22, ttmp6, 15
	s_add_co_i32 s23, s23, 1
	v_and_b32_e32 v7, 0x3ff, v0
	s_mul_i32 s23, ttmp9, s23
	s_mov_b32 s25, s24
	s_add_co_i32 s22, s22, s23
	s_cmp_eq_u32 s37, 0
	s_mov_b32 s26, s24
	s_cselect_b32 s22, ttmp9, s22
	s_mov_b32 s27, s24
	s_lshl_b32 s42, s22, 1
	v_mov_b64_e32 v[8:9], s[24:25]
	v_dual_mov_b32 v2, 0 :: v_dual_lshlrev_b32 v61, 2, v7
	v_mov_b64_e32 v[10:11], s[26:27]
	s_clause 0x1
	scratch_store_b32 off, v2, off
	scratch_store_b128 off, v[8:11], off offset:4
	s_wait_kmcnt 0x0
	s_mul_i32 s23, s36, s30
	s_mul_i32 s25, s28, s42
	;; [unrolled: 1-line block ×3, first 2 shown]
	s_add_co_i32 s23, s23, s25
	v_and_b32_e32 v6, 28, v61
	s_add_co_i32 s26, s23, s26
	v_dual_mov_b32 v3, v2 :: v_dual_mov_b32 v4, v2
	s_ashr_i32 s27, s26, 31
	s_cmp_lt_i32 s42, s34
	v_lshlrev_b32_e32 v19, 3, v6
	s_cselect_b32 s46, -1, 0
	s_cmp_ge_i32 s42, s34
	s_add_nc_u64 s[4:5], s[4:5], s[26:27]
	s_cselect_b32 s43, -1, 0
	s_clause 0x1
	scratch_store_b128 off, v[8:11], off offset:20
	scratch_store_b128 off, v[8:11], off offset:36
	s_and_b32 vcc_lo, exec_lo, s43
	s_clause 0x4
	scratch_store_b128 off, v[8:11], off offset:52
	scratch_store_b128 off, v[8:11], off offset:68
	;; [unrolled: 1-line block ×4, first 2 shown]
	scratch_store_b96 off, v[2:4], off offset:116
	s_cbranch_vccnz .LBB31_7
; %bb.3:
	s_clause 0x1
	global_load_b128 v[2:5], v19, s[4:5]
	global_load_b128 v[8:11], v19, s[4:5] offset:16
	s_wait_loadcnt 0x1
	v_cvt_pk_f16_f32 v2, v2, v3
	v_cvt_pk_f16_f32 v13, v4, v5
	s_wait_loadcnt 0x0
	v_cvt_pk_f16_f32 v14, v8, v9
	v_cvt_pk_f16_f32 v15, v10, v11
	s_and_not1_b32 vcc_lo, exec_lo, s46
	s_cbranch_vccz .LBB31_8
.LBB31_4:
	s_wait_xcnt 0x1
	v_dual_mov_b32 v18, 0 :: v_dual_mov_b32 v10, 0
	v_dual_mov_b32 v9, 0 :: v_dual_mov_b32 v8, 0
	s_and_not1_b32 vcc_lo, exec_lo, s46
	s_cbranch_vccz .LBB31_9
.LBB31_5:
	v_dual_mov_b32 v16, 0 :: v_dual_mov_b32 v17, 0
	s_wait_xcnt 0x0
	v_dual_mov_b32 v5, 0 :: v_dual_mov_b32 v4, 0
	s_and_not1_b32 vcc_lo, exec_lo, s46
	s_cbranch_vccz .LBB31_10
.LBB31_6:
	v_dual_mov_b32 v11, 0 :: v_dual_mov_b32 v12, 0
	v_dual_mov_b32 v3, 0 :: v_dual_mov_b32 v1, 0
	s_branch .LBB31_11
.LBB31_7:
	v_dual_mov_b32 v13, 0 :: v_dual_mov_b32 v14, 0
	v_mov_b32_e32 v15, 0
	s_and_not1_b32 vcc_lo, exec_lo, s46
	s_cbranch_vccnz .LBB31_4
.LBB31_8:
	s_clause 0x1
	global_load_b128 v[8:11], v19, s[4:5] offset:256
	global_load_b128 v[20:23], v19, s[4:5] offset:272
	s_wait_loadcnt 0x1
	v_cvt_pk_f16_f32 v18, v8, v9
	v_cvt_pk_f16_f32 v10, v10, v11
	s_wait_loadcnt 0x0
	v_cvt_pk_f16_f32 v9, v20, v21
	v_cvt_pk_f16_f32 v8, v22, v23
	s_and_not1_b32 vcc_lo, exec_lo, s46
	s_cbranch_vccnz .LBB31_5
.LBB31_9:
	s_clause 0x1
	global_load_b128 v[20:23], v19, s[4:5] offset:512
	global_load_b128 v[24:27], v19, s[4:5] offset:528
	s_wait_loadcnt 0x1
	v_cvt_pk_f16_f32 v16, v20, v21
	v_cvt_pk_f16_f32 v17, v22, v23
	s_wait_loadcnt 0x0
	v_cvt_pk_f16_f32 v5, v24, v25
	s_wait_xcnt 0x2
	v_cvt_pk_f16_f32 v4, v26, v27
	s_and_not1_b32 vcc_lo, exec_lo, s46
	s_cbranch_vccnz .LBB31_6
.LBB31_10:
	s_clause 0x1
	global_load_b128 v[20:23], v19, s[4:5] offset:768
	global_load_b128 v[24:27], v19, s[4:5] offset:784
	s_wait_loadcnt 0x1
	v_cvt_pk_f16_f32 v11, v20, v21
	v_cvt_pk_f16_f32 v12, v22, v23
	s_wait_loadcnt 0x0
	v_cvt_pk_f16_f32 v3, v24, v25
	v_cvt_pk_f16_f32 v1, v26, v27
.LBB31_11:
	s_or_b32 s23, s42, 1
	s_ashr_i32 s29, s28, 31
	s_cmp_lt_i32 s23, s34
	s_wait_xcnt 0x0
	s_add_nc_u64 s[4:5], s[4:5], s[28:29]
	s_cselect_b32 s47, -1, 0
	s_cmp_ge_i32 s23, s34
	s_cbranch_scc1 .LBB31_16
; %bb.12:
	s_clause 0x1
	global_load_b128 v[20:23], v19, s[4:5]
	global_load_b128 v[24:27], v19, s[4:5] offset:16
	s_wait_loadcnt 0x1
	v_cvt_pk_f16_f32 v20, v20, v21
	v_cvt_pk_f16_f32 v21, v22, v23
	s_wait_loadcnt 0x0
	v_cvt_pk_f16_f32 v22, v24, v25
	v_cvt_pk_f16_f32 v23, v26, v27
	v_cndmask_b32_e64 v60, 0, 1, s47
	s_and_not1_b32 vcc_lo, exec_lo, s47
	s_cbranch_vccz .LBB31_17
.LBB31_13:
	v_dual_mov_b32 v24, 0 :: v_dual_mov_b32 v25, 0
	v_dual_mov_b32 v26, 0 :: v_dual_mov_b32 v27, 0
	s_and_not1_b32 vcc_lo, exec_lo, s47
	s_cbranch_vccz .LBB31_18
.LBB31_14:
	v_dual_mov_b32 v28, 0 :: v_dual_mov_b32 v29, 0
	v_dual_mov_b32 v30, 0 :: v_dual_mov_b32 v31, 0
	s_and_not1_b32 vcc_lo, exec_lo, s47
	s_cbranch_vccz .LBB31_19
.LBB31_15:
	s_wait_xcnt 0x0
	v_dual_mov_b32 v19, 0 :: v_dual_mov_b32 v32, 0
	v_dual_mov_b32 v33, 0 :: v_dual_mov_b32 v34, 0
	s_cmp_eq_u64 s[14:15], 0
	s_mov_b32 s44, s40
	s_cbranch_scc0 .LBB31_20
	s_branch .LBB31_21
.LBB31_16:
	v_dual_mov_b32 v20, 0 :: v_dual_mov_b32 v21, 0
	v_dual_mov_b32 v22, 0 :: v_dual_mov_b32 v23, 0
	v_cndmask_b32_e64 v60, 0, 1, s47
	s_and_not1_b32 vcc_lo, exec_lo, s47
	s_cbranch_vccnz .LBB31_13
.LBB31_17:
	s_clause 0x1
	global_load_b128 v[24:27], v19, s[4:5] offset:256
	global_load_b128 v[28:31], v19, s[4:5] offset:272
	s_wait_loadcnt 0x1
	v_cvt_pk_f16_f32 v24, v24, v25
	v_cvt_pk_f16_f32 v25, v26, v27
	s_wait_loadcnt 0x0
	v_cvt_pk_f16_f32 v26, v28, v29
	v_cvt_pk_f16_f32 v27, v30, v31
	s_and_not1_b32 vcc_lo, exec_lo, s47
	s_cbranch_vccnz .LBB31_14
.LBB31_18:
	s_clause 0x1
	global_load_b128 v[28:31], v19, s[4:5] offset:512
	global_load_b128 v[32:35], v19, s[4:5] offset:528
	s_wait_loadcnt 0x1
	v_cvt_pk_f16_f32 v28, v28, v29
	v_cvt_pk_f16_f32 v29, v30, v31
	s_wait_loadcnt 0x0
	v_cvt_pk_f16_f32 v30, v32, v33
	v_cvt_pk_f16_f32 v31, v34, v35
	s_and_not1_b32 vcc_lo, exec_lo, s47
	s_cbranch_vccnz .LBB31_15
.LBB31_19:
	s_clause 0x1
	global_load_b128 v[32:35], v19, s[4:5] offset:768
	global_load_b128 v[36:39], v19, s[4:5] offset:784
	s_wait_loadcnt 0x1
	s_wait_xcnt 0x0
	v_cvt_pk_f16_f32 v19, v32, v33
	v_cvt_pk_f16_f32 v32, v34, v35
	s_wait_loadcnt 0x0
	v_cvt_pk_f16_f32 v33, v36, v37
	v_cvt_pk_f16_f32 v34, v38, v39
	s_cmp_eq_u64 s[14:15], 0
	s_mov_b32 s44, s40
	s_cbranch_scc1 .LBB31_21
.LBB31_20:
	s_load_b32 s4, s[0:1], 0xd0
	s_wait_kmcnt 0x0
	s_mul_i32 s4, s4, s36
	s_delay_alu instid0(SALU_CYCLE_1)
	s_add_co_i32 s4, s4, s22
	s_load_b32 s44, s[14:15], s4 offset:0x0 scale_offset
.LBB31_21:
	v_bfe_u32 v62, v0, 10, 10
	s_bfe_u32 s5, ttmp6, 0x40010
	s_wait_xcnt 0x0
	s_and_b32 s4, ttmp7, 0xffff
	s_add_co_i32 s5, s5, 1
	s_bfe_u32 s14, ttmp6, 0x40004
	v_lshlrev_b32_e32 v0, 5, v62
	s_mul_i32 s5, s4, s5
	v_mbcnt_lo_u32_b32 v63, -1, 0
	s_add_co_i32 s14, s14, s5
	s_cmp_eq_u32 s37, 0
	v_add_nc_u32_e32 v58, v0, v7
	s_cselect_b32 s30, s4, s14
	s_mov_b32 s25, 0
	s_lshl_b32 s45, s30, 7
	s_add_nc_u64 s[14:15], s[0:1], 0xd0
	v_lshlrev_b32_e32 v59, 1, v58
	s_wait_kmcnt 0x0
	s_cmp_ge_i32 s45, s44
	s_cbranch_scc1 .LBB31_121
; %bb.22:
	s_mul_f32 s4, s41, 0x4f7ffffe
	s_mul_f32 s5, s21, 0x4f7ffffe
	s_sub_co_i32 s21, 0, s38
	s_sub_co_i32 s22, 0, s2
	s_cvt_u32_f32 s23, s4
	s_cvt_u32_f32 s5, s5
	s_cvt_f16_f32 s20, s20
	s_abs_i32 s28, s33
	s_mul_i32 s21, s21, s23
	s_mul_i32 s22, s22, s5
	s_mul_hi_u32 s21, s23, s21
	s_mul_hi_u32 s26, s5, s22
	s_abs_i32 s4, s36
	s_add_co_i32 s22, s23, s21
	s_add_co_i32 s26, s5, s26
	s_mov_b32 s29, s24
	s_mov_b32 s23, s24
	;; [unrolled: 1-line block ×4, first 2 shown]
	s_and_b32 s20, 0xffff, s20
	s_mul_u64 s[48:49], s[28:29], s[22:23]
	s_mul_i32 s41, s20, 0x10001
	s_mul_u64 s[50:51], s[4:5], s[26:27]
	s_clause 0x1
	s_load_b64 s[26:27], s[0:1], 0x8c
	s_load_b128 s[20:23], s[0:1], 0x98
	s_mul_i32 s5, s49, s38
	s_ashr_i32 s24, s33, 31
	s_ashr_i32 s39, s39, 31
	s_sub_co_i32 s5, s28, s5
	s_ashr_i32 s37, s36, 31
	s_xor_b32 s24, s24, s39
	s_add_co_i32 s28, s49, 1
	s_sub_co_i32 s29, s5, s38
	v_pk_mul_f16 v100, v2, s41
	s_cmp_ge_u32 s5, s38
	v_and_b32_e32 v2, 0x78, v7
	s_cselect_b32 s28, s28, s49
	s_cselect_b32 s5, s29, s5
	s_add_co_i32 s29, s28, 1
	s_cmp_ge_u32 s5, s38
	v_pk_mul_f16 v107, v8, s41
	v_add_nc_u32_e32 v8, v0, v2
	s_cselect_b32 s5, s29, s28
	v_pk_mul_f16 v105, v10, s41
	s_xor_b32 s5, s5, s24
	s_clause 0x1
	s_load_b64 s[38:39], s[0:1], 0xa8
	s_load_b64 s[48:49], s[0:1], 0xc8
	s_wait_kmcnt 0x0
	v_mul_lo_u32 v10, v8, s26
	s_sub_co_i32 s5, s5, s24
	s_mul_i32 s24, s51, s2
	s_mul_i32 s28, s5, s27
	;; [unrolled: 1-line block ×3, first 2 shown]
	s_sub_co_i32 s4, s4, s24
	s_ashr_i32 s29, s28, 31
	s_ashr_i32 s51, s50, 31
	s_sub_co_i32 s5, s4, s2
	s_cmp_ge_u32 s4, s2
	v_pk_mul_f16 v113, v12, s41
	s_cselect_b32 s4, s5, s4
	v_add_nc_u32_e32 v12, s26, v10
	s_sub_co_i32 s5, s4, s2
	s_cmp_ge_u32 s4, s2
	v_pk_mul_f16 v102, v14, s41
	s_cselect_b32 s2, s5, s4
	v_pk_mul_f16 v109, v17, s41
	s_xor_b32 s2, s2, s37
	v_dual_mov_b32 v17, 0 :: v_dual_add_nc_u32 v14, s26, v12
	s_sub_co_i32 s4, s2, s37
	v_pk_mul_f16 v104, v18, s41
	s_ashr_i32 s5, s4, 31
	s_mul_u64 s[20:21], s[20:21], s[36:37]
	s_mul_u64 s[4:5], s[48:49], s[4:5]
	s_mul_i32 s2, s3, s42
	v_pk_mul_f16 v115, v1, s41
	v_dual_lshrrev_b32 v2, 3, v7 :: v_dual_bitop2_b32 v1, 7, v7 bitop3:0x40
	v_add_nc_u32_e32 v18, s26, v14
	s_add_nc_u64 s[6:7], s[6:7], s[20:21]
	s_mul_u64 s[20:21], s[38:39], s[36:37]
	s_add_nc_u64 s[4:5], s[10:11], s[4:5]
	s_ashr_i32 s3, s2, 31
	s_add_nc_u64 s[8:9], s[8:9], s[20:21]
	s_add_nc_u64 s[2:3], s[4:5], s[2:3]
	s_lshl_b32 s24, s45, 1
	v_pk_mul_f16 v84, v20, s41
	v_pk_mul_f16 v86, v22, s41
	;; [unrolled: 1-line block ×3, first 2 shown]
	v_dual_add_nc_u32 v20, s40, v8 :: v_dual_add_nc_u32 v22, s26, v18
	v_dual_add_nc_u32 v3, v0, v2 :: v_dual_bitop2_b32 v0, v0, v2 bitop3:0x54
	s_add_nc_u64 s[4:5], s[8:9], s[50:51]
	s_add_nc_u64 s[20:21], s[2:3], s[24:25]
	s_mul_i32 s24, s22, s45
	s_add_nc_u64 s[2:3], s[6:7], s[28:29]
	s_add_nc_u64 s[28:29], s[4:5], s[24:25]
	s_mul_i32 s24, s26, s45
	v_pk_mul_f16 v85, v21, s41
	v_pk_mul_f16 v87, v23, s41
	;; [unrolled: 1-line block ×3, first 2 shown]
	s_add_nc_u64 s[38:39], s[2:3], s[24:25]
	v_cmp_eq_u32_e64 s2, 0, v1
	v_ashrrev_i32_e32 v21, 31, v20
	v_cmp_eq_u32_e64 s3, 1, v1
	v_cmp_eq_u32_e64 s4, 2, v1
	;; [unrolled: 1-line block ×3, first 2 shown]
	v_ashrrev_i32_e32 v23, 31, v22
	v_cmp_eq_u32_e64 s6, 4, v1
	v_cmp_eq_u32_e64 s7, 5, v1
	;; [unrolled: 1-line block ×4, first 2 shown]
	v_dual_add_nc_u32 v1, 4, v3 :: v_dual_add_nc_u32 v2, 8, v3
	v_add_nc_u32_e32 v4, 12, v3
	v_pk_mul_f16 v97, v32, s41
	v_pk_mul_f16 v99, v34, s41
	;; [unrolled: 1-line block ×3, first 2 shown]
	v_or_b32_e32 v5, 16, v0
	v_mul_lo_u32 v32, v1, s22
	v_mul_lo_u32 v34, v2, s22
	v_add_nc_u32_e32 v1, 20, v3
	v_mul_lo_u32 v36, v4, s22
	v_dual_add_nc_u32 v2, 24, v3 :: v_dual_add_nc_u32 v4, 28, v3
	v_pk_mul_f16 v88, v24, s41
	v_pk_mul_f16 v101, v13, s41
	v_dual_ashrrev_i32 v13, 31, v12 :: v_dual_add_nc_u32 v24, s26, v22
	v_pk_mul_f16 v94, v30, s41
	v_mul_lo_u32 v30, v0, s22
	v_mul_lo_u32 v38, v5, s22
	;; [unrolled: 1-line block ×5, first 2 shown]
	v_pk_mul_f16 v90, v26, s41
	v_pk_mul_f16 v103, v15, s41
	v_dual_ashrrev_i32 v15, 31, v14 :: v_dual_add_nc_u32 v26, s26, v24
	v_dual_lshlrev_b32 v65, 1, v0 :: v_dual_lshlrev_b32 v0, 3, v7
	v_pk_mul_f16 v106, v9, s41
	v_pk_mul_f16 v112, v11, s41
	v_dual_ashrrev_i32 v11, 31, v10 :: v_dual_mov_b32 v9, v17
	s_cmp_lg_u64 s[10:11], 0
	v_pk_mul_f16 v92, v28, s41
	v_dual_add_nc_u32 v28, s26, v26 :: v_dual_bitop2_b32 v0, 56, v0 bitop3:0x40
	v_ashrrev_i32_e32 v43, 31, v42
	v_pk_mul_f16 v89, v25, s41
	v_pk_mul_f16 v91, v27, s41
	;; [unrolled: 1-line block ×7, first 2 shown]
	s_cselect_b32 s24, -1, 0
	s_ashr_i32 s41, s40, 31
	v_dual_ashrrev_i32 v19, 31, v18 :: v_dual_ashrrev_i32 v25, 31, v24
	v_add_nc_u64_e32 v[48:49], s[40:41], v[8:9]
	v_dual_ashrrev_i32 v27, 31, v26 :: v_dual_ashrrev_i32 v29, 31, v28
	v_dual_ashrrev_i32 v31, 31, v30 :: v_dual_ashrrev_i32 v33, 31, v32
	v_dual_ashrrev_i32 v35, 31, v34 :: v_dual_ashrrev_i32 v37, 31, v36
	v_dual_ashrrev_i32 v39, 31, v38 :: v_dual_ashrrev_i32 v41, 31, v40
	v_dual_lshlrev_b32 v66, 1, v3 :: v_dual_ashrrev_i32 v45, 31, v44
	v_dual_lshlrev_b32 v16, 2, v6 :: v_dual_lshlrev_b32 v46, 1, v0
	v_dual_mov_b32 v4, v17 :: v_dual_mov_b32 v5, v17
	v_dual_mov_b32 v50, v17 :: v_dual_mov_b32 v51, v17
	v_mov_b32_e32 v67, 0xfeffffff
	v_mov_b32_e32 v9, 0xfeffffff
	s_add_nc_u64 s[10:11], s[0:1], 0xd0
	s_and_b32 s23, s24, s46
	s_and_b32 s27, s24, s47
	s_mov_b32 s37, 0xbbbac73d
.LBB31_23:                              ; =>This Inner Loop Header: Depth=1
	v_add_nc_u64_e32 v[52:53], s[38:39], v[16:17]
	v_dual_mov_b32 v72, v17 :: v_dual_bitop2_b32 v47, 24, v63 bitop3:0x40
	s_wait_xcnt 0x2
	s_delay_alu instid0(VALU_DEP_2)
	v_add_nc_u64_e32 v[54:55], v[52:53], v[10:11]
	global_load_b128 v[0:3], v[54:55], off
	s_wait_loadcnt 0x0
	;;#ASMSTART
	v_dot2_f32_f16 v72, v0, v100, v72
	;;#ASMEND
	;;#ASMSTART
	v_dot2_f32_f16 v72, v1, v101, v72
	;;#ASMEND
	;;#ASMSTART
	v_dot2_f32_f16 v72, v2, v102, v72
	;;#ASMEND
	;;#ASMSTART
	v_dot2_f32_f16 v72, v3, v103, v72
	;;#ASMEND
	global_load_b128 v[68:71], v[54:55], off offset:128
	s_wait_loadcnt 0x0
	;;#ASMSTART
	v_dot2_f32_f16 v72, v68, v104, v72
	;;#ASMEND
	;;#ASMSTART
	v_dot2_f32_f16 v72, v69, v105, v72
	;;#ASMEND
	;;#ASMSTART
	v_dot2_f32_f16 v72, v70, v106, v72
	;;#ASMEND
	;;#ASMSTART
	v_dot2_f32_f16 v72, v71, v107, v72
	;;#ASMEND
	global_load_b128 v[68:71], v[54:55], off offset:256
	s_wait_loadcnt 0x0
	;;#ASMSTART
	v_dot2_f32_f16 v72, v68, v108, v72
	;;#ASMEND
	;;#ASMSTART
	v_dot2_f32_f16 v72, v69, v109, v72
	;;#ASMEND
	;;#ASMSTART
	v_dot2_f32_f16 v72, v70, v110, v72
	;;#ASMEND
	;;#ASMSTART
	v_dot2_f32_f16 v72, v71, v111, v72
	;;#ASMEND
	global_load_b128 v[68:71], v[54:55], off offset:384
	s_wait_loadcnt 0x0
	;;#ASMSTART
	v_dot2_f32_f16 v72, v68, v112, v72
	;;#ASMEND
	;;#ASMSTART
	v_dot2_f32_f16 v72, v69, v113, v72
	;;#ASMEND
	;;#ASMSTART
	v_dot2_f32_f16 v72, v70, v114, v72
	;;#ASMEND
	;;#ASMSTART
	v_dot2_f32_f16 v72, v71, v115, v72
	;;#ASMEND
	v_xor_b32_e32 v68, 2, v63
	v_xor_b32_e32 v56, 4, v63
	v_add_nc_u32_e32 v57, 8, v47
	s_delay_alu instid0(VALU_DEP_1) | instskip(SKIP_2) | instid1(VALU_DEP_2)
	v_cmp_lt_i32_e32 vcc_lo, v56, v57
	v_cndmask_b32_e32 v47, v63, v56, vcc_lo
	v_cmp_lt_i32_e32 vcc_lo, v68, v57
	v_dual_cndmask_b32 v68, v63, v68 :: v_dual_lshlrev_b32 v47, 2, v47
	s_delay_alu instid0(VALU_DEP_1)
	v_lshlrev_b32_e32 v80, 2, v68
	ds_bpermute_b32 v56, v47, v72
	s_wait_dscnt 0x0
	v_add_f32_e32 v56, v72, v56
	ds_bpermute_b32 v68, v80, v56
	s_wait_dscnt 0x0
	v_dual_add_f32 v56, v56, v68 :: v_dual_bitop2_b32 v69, 1, v63 bitop3:0x14
	s_delay_alu instid0(VALU_DEP_1) | instskip(SKIP_1) | instid1(VALU_DEP_1)
	v_cmp_lt_i32_e32 vcc_lo, v69, v57
	v_cndmask_b32_e32 v57, v63, v69, vcc_lo
	v_lshlrev_b32_e32 v81, 2, v57
	ds_bpermute_b32 v57, v81, v56
	s_wait_dscnt 0x0
	v_add_f32_e32 v56, v56, v57
                                        ; implicit-def: $vgpr57
	s_delay_alu instid0(VALU_DEP_1) | instskip(SKIP_2) | instid1(SALU_CYCLE_1)
	v_cmp_ngt_f32_e64 s24, 0x3f200000, |v56|
	s_wait_xcnt 0x0
	s_and_saveexec_b32 s40, s24
	s_xor_b32 s24, exec_lo, s40
	s_cbranch_execz .LBB31_25
; %bb.24:                               ;   in Loop: Header=BB31_23 Depth=1
	v_add_f32_e64 v57, |v56|, |v56|
	s_delay_alu instid0(VALU_DEP_1) | instskip(SKIP_1) | instid1(VALU_DEP_2)
	v_mul_f32_e32 v68, 0x3fb8aa3b, v57
	v_cmp_ngt_f32_e32 vcc_lo, 0xc2ce8ed0, v57
	v_rndne_f32_e32 v69, v68
	v_fma_f32 v70, 0x3fb8aa3b, v57, -v68
	s_delay_alu instid0(VALU_DEP_2) | instskip(NEXT) | instid1(VALU_DEP_2)
	v_sub_f32_e32 v68, v68, v69
	v_fmac_f32_e32 v70, 0x32a5705f, v57
	v_cvt_i32_f32_e32 v69, v69
	s_delay_alu instid0(VALU_DEP_2) | instskip(NEXT) | instid1(VALU_DEP_1)
	v_add_f32_e32 v68, v68, v70
	v_exp_f32_e32 v68, v68
	v_nop
	s_delay_alu instid0(TRANS32_DEP_1) | instskip(NEXT) | instid1(VALU_DEP_1)
	v_ldexp_f32 v68, v68, v69
	v_cndmask_b32_e32 v68, 0, v68, vcc_lo
	v_cmp_nlt_f32_e32 vcc_lo, 0x42b17218, v57
	s_delay_alu instid0(VALU_DEP_2) | instskip(NEXT) | instid1(VALU_DEP_1)
	v_cndmask_b32_e32 v57, 0x7f800000, v68, vcc_lo
	v_add_f32_e32 v57, 1.0, v57
	s_delay_alu instid0(VALU_DEP_1) | instskip(SKIP_1) | instid1(TRANS32_DEP_1)
	v_rcp_f32_e32 v57, v57
	v_nop
	v_fma_f32 v57, v57, -2.0, 1.0
.LBB31_25:                              ;   in Loop: Header=BB31_23 Depth=1
	s_and_not1_saveexec_b32 s24, s24
	s_cbranch_execz .LBB31_27
; %bb.26:                               ;   in Loop: Header=BB31_23 Depth=1
	v_mul_f32_e32 v57, v56, v56
	s_delay_alu instid0(VALU_DEP_1) | instskip(NEXT) | instid1(VALU_DEP_1)
	v_fmaak_f32 v68, s37, v57, 0x3ca908c9
	v_fmaak_f32 v68, v57, v68, 0xbd5c1c4e
	s_delay_alu instid0(VALU_DEP_1) | instskip(NEXT) | instid1(VALU_DEP_1)
	v_fmaak_f32 v68, v57, v68, 0x3e088382
	v_fmaak_f32 v68, v57, v68, 0xbeaaaa99
	s_delay_alu instid0(VALU_DEP_1) | instskip(NEXT) | instid1(VALU_DEP_1)
	v_mul_f32_e64 v68, |v56|, v68
	v_fma_f32 v57, v57, v68, |v56|
.LBB31_27:                              ;   in Loop: Header=BB31_23 Depth=1
	s_or_b32 exec_lo, exec_lo, s24
	s_delay_alu instid0(VALU_DEP_1) | instskip(SKIP_1) | instid1(VALU_DEP_1)
	v_bfi_b32 v56, 0x7fffffff, v57, v56
	s_and_not1_b32 vcc_lo, exec_lo, s23
	v_mul_f32_e32 v68, s31, v56
	s_cbranch_vccnz .LBB31_29
; %bb.28:                               ;   in Loop: Header=BB31_23 Depth=1
	global_load_u16 v56, v8, s[20:21] scale_offset
	s_wait_loadcnt 0x0
	v_fma_mix_f32 v68, v64, v56, v68 op_sel_hi:[0,1,0]
.LBB31_29:                              ;   in Loop: Header=BB31_23 Depth=1
	v_mov_b32_e32 v56, v17
	;;#ASMSTART
	v_dot2_f32_f16 v56, v0, v84, v56
	;;#ASMEND
	;;#ASMSTART
	v_dot2_f32_f16 v56, v1, v85, v56
	;;#ASMEND
	;;#ASMSTART
	v_dot2_f32_f16 v56, v2, v86, v56
	;;#ASMEND
	;;#ASMSTART
	v_dot2_f32_f16 v56, v3, v87, v56
	;;#ASMEND
	global_load_b128 v[0:3], v[54:55], off offset:128
	s_wait_loadcnt 0x0
	;;#ASMSTART
	v_dot2_f32_f16 v56, v0, v88, v56
	;;#ASMEND
	;;#ASMSTART
	v_dot2_f32_f16 v56, v1, v89, v56
	;;#ASMEND
	;;#ASMSTART
	v_dot2_f32_f16 v56, v2, v90, v56
	;;#ASMEND
	;;#ASMSTART
	v_dot2_f32_f16 v56, v3, v91, v56
	;;#ASMEND
	global_load_b128 v[0:3], v[54:55], off offset:256
	s_wait_loadcnt 0x0
	;; [unrolled: 14-line block ×3, first 2 shown]
	;;#ASMSTART
	v_dot2_f32_f16 v56, v0, v96, v56
	;;#ASMEND
	;;#ASMSTART
	v_dot2_f32_f16 v56, v1, v97, v56
	;;#ASMEND
	;; [unrolled: 3-line block ×4, first 2 shown]
	ds_bpermute_b32 v0, v47, v56
	s_wait_dscnt 0x0
	v_add_f32_e32 v0, v56, v0
	ds_bpermute_b32 v1, v80, v0
	s_wait_dscnt 0x0
	v_add_f32_e32 v0, v0, v1
	ds_bpermute_b32 v1, v81, v0
	s_wait_dscnt 0x0
	v_add_f32_e32 v0, v0, v1
                                        ; implicit-def: $vgpr1
	s_delay_alu instid0(VALU_DEP_1) | instskip(SKIP_2) | instid1(SALU_CYCLE_1)
	v_cmp_ngt_f32_e64 s24, 0x3f200000, |v0|
	s_wait_xcnt 0x0
	s_and_saveexec_b32 s40, s24
	s_xor_b32 s24, exec_lo, s40
	s_cbranch_execz .LBB31_31
; %bb.30:                               ;   in Loop: Header=BB31_23 Depth=1
	v_add_f32_e64 v1, |v0|, |v0|
	s_delay_alu instid0(VALU_DEP_1) | instskip(SKIP_1) | instid1(VALU_DEP_2)
	v_mul_f32_e32 v2, 0x3fb8aa3b, v1
	v_cmp_ngt_f32_e32 vcc_lo, 0xc2ce8ed0, v1
	v_rndne_f32_e32 v3, v2
	v_fma_f32 v54, 0x3fb8aa3b, v1, -v2
	s_delay_alu instid0(VALU_DEP_2) | instskip(NEXT) | instid1(VALU_DEP_2)
	v_sub_f32_e32 v2, v2, v3
	v_fmac_f32_e32 v54, 0x32a5705f, v1
	v_cvt_i32_f32_e32 v3, v3
	s_delay_alu instid0(VALU_DEP_2) | instskip(NEXT) | instid1(VALU_DEP_1)
	v_add_f32_e32 v2, v2, v54
	v_exp_f32_e32 v2, v2
	v_nop
	s_delay_alu instid0(TRANS32_DEP_1) | instskip(NEXT) | instid1(VALU_DEP_1)
	v_ldexp_f32 v2, v2, v3
	v_cndmask_b32_e32 v2, 0, v2, vcc_lo
	v_cmp_nlt_f32_e32 vcc_lo, 0x42b17218, v1
	s_delay_alu instid0(VALU_DEP_2) | instskip(NEXT) | instid1(VALU_DEP_1)
	v_cndmask_b32_e32 v1, 0x7f800000, v2, vcc_lo
	v_add_f32_e32 v1, 1.0, v1
	s_delay_alu instid0(VALU_DEP_1) | instskip(SKIP_1) | instid1(TRANS32_DEP_1)
	v_rcp_f32_e32 v1, v1
	v_nop
	v_fma_f32 v1, v1, -2.0, 1.0
.LBB31_31:                              ;   in Loop: Header=BB31_23 Depth=1
	s_and_not1_saveexec_b32 s24, s24
	s_cbranch_execz .LBB31_33
; %bb.32:                               ;   in Loop: Header=BB31_23 Depth=1
	v_mul_f32_e32 v1, v0, v0
	s_delay_alu instid0(VALU_DEP_1) | instskip(NEXT) | instid1(VALU_DEP_1)
	v_fmaak_f32 v2, s37, v1, 0x3ca908c9
	v_fmaak_f32 v2, v1, v2, 0xbd5c1c4e
	s_delay_alu instid0(VALU_DEP_1) | instskip(NEXT) | instid1(VALU_DEP_1)
	v_fmaak_f32 v2, v1, v2, 0x3e088382
	v_fmaak_f32 v2, v1, v2, 0xbeaaaa99
	s_delay_alu instid0(VALU_DEP_1) | instskip(NEXT) | instid1(VALU_DEP_1)
	v_mul_f32_e64 v2, |v0|, v2
	v_fma_f32 v1, v1, v2, |v0|
.LBB31_33:                              ;   in Loop: Header=BB31_23 Depth=1
	s_or_b32 exec_lo, exec_lo, s24
	s_delay_alu instid0(VALU_DEP_1) | instskip(SKIP_1) | instid1(VALU_DEP_1)
	v_bfi_b32 v0, 0x7fffffff, v1, v0
	s_and_not1_b32 vcc_lo, exec_lo, s27
	v_mul_f32_e32 v69, s31, v0
	s_cbranch_vccnz .LBB31_35
; %bb.34:                               ;   in Loop: Header=BB31_23 Depth=1
	v_lshl_add_u64 v[0:1], v[20:21], 1, s[20:21]
	global_load_u16 v0, v[0:1], off
	s_wait_loadcnt 0x0
	v_fma_mix_f32 v69, v64, v0, v69 op_sel_hi:[0,1,0]
.LBB31_35:                              ;   in Loop: Header=BB31_23 Depth=1
	v_add_nc_u64_e32 v[54:55], v[52:53], v[12:13]
	v_mov_b32_e32 v57, v17
	global_load_b128 v[0:3], v[54:55], off
	s_wait_loadcnt 0x0
	;;#ASMSTART
	v_dot2_f32_f16 v57, v0, v100, v57
	;;#ASMEND
	;;#ASMSTART
	v_dot2_f32_f16 v57, v1, v101, v57
	;;#ASMEND
	;;#ASMSTART
	v_dot2_f32_f16 v57, v2, v102, v57
	;;#ASMEND
	;;#ASMSTART
	v_dot2_f32_f16 v57, v3, v103, v57
	;;#ASMEND
	global_load_b128 v[70:73], v[54:55], off offset:128
	s_wait_loadcnt 0x0
	;;#ASMSTART
	v_dot2_f32_f16 v57, v70, v104, v57
	;;#ASMEND
	;;#ASMSTART
	v_dot2_f32_f16 v57, v71, v105, v57
	;;#ASMEND
	;;#ASMSTART
	v_dot2_f32_f16 v57, v72, v106, v57
	;;#ASMEND
	;;#ASMSTART
	v_dot2_f32_f16 v57, v73, v107, v57
	;;#ASMEND
	global_load_b128 v[70:73], v[54:55], off offset:256
	;; [unrolled: 14-line block ×3, first 2 shown]
	s_wait_loadcnt 0x0
	;;#ASMSTART
	v_dot2_f32_f16 v57, v70, v112, v57
	;;#ASMEND
	;;#ASMSTART
	v_dot2_f32_f16 v57, v71, v113, v57
	;;#ASMEND
	;; [unrolled: 3-line block ×4, first 2 shown]
	ds_bpermute_b32 v56, v47, v57
	s_wait_dscnt 0x0
	v_add_f32_e32 v56, v57, v56
	ds_bpermute_b32 v57, v80, v56
	s_wait_dscnt 0x0
	v_add_f32_e32 v56, v56, v57
	ds_bpermute_b32 v57, v81, v56
	s_wait_dscnt 0x0
	v_add_f32_e32 v56, v56, v57
                                        ; implicit-def: $vgpr57
	s_delay_alu instid0(VALU_DEP_1) | instskip(SKIP_2) | instid1(SALU_CYCLE_1)
	v_cmp_ngt_f32_e64 s24, 0x3f200000, |v56|
	s_wait_xcnt 0x0
	s_and_saveexec_b32 s40, s24
	s_xor_b32 s24, exec_lo, s40
	s_cbranch_execz .LBB31_37
; %bb.36:                               ;   in Loop: Header=BB31_23 Depth=1
	v_add_f32_e64 v57, |v56|, |v56|
	s_delay_alu instid0(VALU_DEP_1) | instskip(SKIP_1) | instid1(VALU_DEP_2)
	v_mul_f32_e32 v70, 0x3fb8aa3b, v57
	v_cmp_ngt_f32_e32 vcc_lo, 0xc2ce8ed0, v57
	v_rndne_f32_e32 v71, v70
	v_fma_f32 v72, 0x3fb8aa3b, v57, -v70
	s_delay_alu instid0(VALU_DEP_2) | instskip(NEXT) | instid1(VALU_DEP_2)
	v_sub_f32_e32 v70, v70, v71
	v_fmac_f32_e32 v72, 0x32a5705f, v57
	v_cvt_i32_f32_e32 v71, v71
	s_delay_alu instid0(VALU_DEP_2) | instskip(NEXT) | instid1(VALU_DEP_1)
	v_add_f32_e32 v70, v70, v72
	v_exp_f32_e32 v70, v70
	v_nop
	s_delay_alu instid0(TRANS32_DEP_1) | instskip(NEXT) | instid1(VALU_DEP_1)
	v_ldexp_f32 v70, v70, v71
	v_cndmask_b32_e32 v70, 0, v70, vcc_lo
	v_cmp_nlt_f32_e32 vcc_lo, 0x42b17218, v57
	s_delay_alu instid0(VALU_DEP_2) | instskip(NEXT) | instid1(VALU_DEP_1)
	v_cndmask_b32_e32 v57, 0x7f800000, v70, vcc_lo
	v_add_f32_e32 v57, 1.0, v57
	s_delay_alu instid0(VALU_DEP_1) | instskip(SKIP_1) | instid1(TRANS32_DEP_1)
	v_rcp_f32_e32 v57, v57
	v_nop
	v_fma_f32 v57, v57, -2.0, 1.0
.LBB31_37:                              ;   in Loop: Header=BB31_23 Depth=1
	s_and_not1_saveexec_b32 s24, s24
	s_cbranch_execz .LBB31_39
; %bb.38:                               ;   in Loop: Header=BB31_23 Depth=1
	v_mul_f32_e32 v57, v56, v56
	s_delay_alu instid0(VALU_DEP_1) | instskip(NEXT) | instid1(VALU_DEP_1)
	v_fmaak_f32 v70, s37, v57, 0x3ca908c9
	v_fmaak_f32 v70, v57, v70, 0xbd5c1c4e
	s_delay_alu instid0(VALU_DEP_1) | instskip(NEXT) | instid1(VALU_DEP_1)
	v_fmaak_f32 v70, v57, v70, 0x3e088382
	v_fmaak_f32 v70, v57, v70, 0xbeaaaa99
	s_delay_alu instid0(VALU_DEP_1) | instskip(NEXT) | instid1(VALU_DEP_1)
	v_mul_f32_e64 v70, |v56|, v70
	v_fma_f32 v57, v57, v70, |v56|
.LBB31_39:                              ;   in Loop: Header=BB31_23 Depth=1
	s_or_b32 exec_lo, exec_lo, s24
	s_delay_alu instid0(VALU_DEP_1) | instskip(SKIP_1) | instid1(VALU_DEP_1)
	v_bfi_b32 v56, 0x7fffffff, v57, v56
	s_and_not1_b32 vcc_lo, exec_lo, s23
	v_mul_f32_e32 v70, s31, v56
	s_cbranch_vccnz .LBB31_41
; %bb.40:                               ;   in Loop: Header=BB31_23 Depth=1
	global_load_u16 v56, v8, s[20:21] offset:2 scale_offset
	s_wait_loadcnt 0x0
	v_fma_mix_f32 v70, v64, v56, v70 op_sel_hi:[0,1,0]
.LBB31_41:                              ;   in Loop: Header=BB31_23 Depth=1
	v_mov_b32_e32 v56, v17
	;;#ASMSTART
	v_dot2_f32_f16 v56, v0, v84, v56
	;;#ASMEND
	;;#ASMSTART
	v_dot2_f32_f16 v56, v1, v85, v56
	;;#ASMEND
	;;#ASMSTART
	v_dot2_f32_f16 v56, v2, v86, v56
	;;#ASMEND
	;;#ASMSTART
	v_dot2_f32_f16 v56, v3, v87, v56
	;;#ASMEND
	global_load_b128 v[0:3], v[54:55], off offset:128
	s_wait_loadcnt 0x0
	;;#ASMSTART
	v_dot2_f32_f16 v56, v0, v88, v56
	;;#ASMEND
	;;#ASMSTART
	v_dot2_f32_f16 v56, v1, v89, v56
	;;#ASMEND
	;;#ASMSTART
	v_dot2_f32_f16 v56, v2, v90, v56
	;;#ASMEND
	;;#ASMSTART
	v_dot2_f32_f16 v56, v3, v91, v56
	;;#ASMEND
	global_load_b128 v[0:3], v[54:55], off offset:256
	s_wait_loadcnt 0x0
	;; [unrolled: 14-line block ×3, first 2 shown]
	;;#ASMSTART
	v_dot2_f32_f16 v56, v0, v96, v56
	;;#ASMEND
	;;#ASMSTART
	v_dot2_f32_f16 v56, v1, v97, v56
	;;#ASMEND
	;; [unrolled: 3-line block ×4, first 2 shown]
	ds_bpermute_b32 v0, v47, v56
	s_wait_dscnt 0x0
	v_add_f32_e32 v0, v56, v0
	ds_bpermute_b32 v1, v80, v0
	s_wait_dscnt 0x0
	v_add_f32_e32 v0, v0, v1
	;; [unrolled: 3-line block ×3, first 2 shown]
                                        ; implicit-def: $vgpr1
	s_delay_alu instid0(VALU_DEP_1) | instskip(SKIP_2) | instid1(SALU_CYCLE_1)
	v_cmp_ngt_f32_e64 s24, 0x3f200000, |v0|
	s_wait_xcnt 0x0
	s_and_saveexec_b32 s40, s24
	s_xor_b32 s24, exec_lo, s40
	s_cbranch_execz .LBB31_43
; %bb.42:                               ;   in Loop: Header=BB31_23 Depth=1
	v_add_f32_e64 v1, |v0|, |v0|
	s_delay_alu instid0(VALU_DEP_1) | instskip(SKIP_1) | instid1(VALU_DEP_2)
	v_mul_f32_e32 v2, 0x3fb8aa3b, v1
	v_cmp_ngt_f32_e32 vcc_lo, 0xc2ce8ed0, v1
	v_rndne_f32_e32 v3, v2
	v_fma_f32 v54, 0x3fb8aa3b, v1, -v2
	s_delay_alu instid0(VALU_DEP_2) | instskip(NEXT) | instid1(VALU_DEP_2)
	v_sub_f32_e32 v2, v2, v3
	v_fmac_f32_e32 v54, 0x32a5705f, v1
	v_cvt_i32_f32_e32 v3, v3
	s_delay_alu instid0(VALU_DEP_2) | instskip(NEXT) | instid1(VALU_DEP_1)
	v_add_f32_e32 v2, v2, v54
	v_exp_f32_e32 v2, v2
	v_nop
	s_delay_alu instid0(TRANS32_DEP_1) | instskip(NEXT) | instid1(VALU_DEP_1)
	v_ldexp_f32 v2, v2, v3
	v_cndmask_b32_e32 v2, 0, v2, vcc_lo
	v_cmp_nlt_f32_e32 vcc_lo, 0x42b17218, v1
	s_delay_alu instid0(VALU_DEP_2) | instskip(NEXT) | instid1(VALU_DEP_1)
	v_cndmask_b32_e32 v1, 0x7f800000, v2, vcc_lo
	v_add_f32_e32 v1, 1.0, v1
	s_delay_alu instid0(VALU_DEP_1) | instskip(SKIP_1) | instid1(TRANS32_DEP_1)
	v_rcp_f32_e32 v1, v1
	v_nop
	v_fma_f32 v1, v1, -2.0, 1.0
.LBB31_43:                              ;   in Loop: Header=BB31_23 Depth=1
	s_and_not1_saveexec_b32 s24, s24
	s_cbranch_execz .LBB31_45
; %bb.44:                               ;   in Loop: Header=BB31_23 Depth=1
	v_mul_f32_e32 v1, v0, v0
	s_delay_alu instid0(VALU_DEP_1) | instskip(NEXT) | instid1(VALU_DEP_1)
	v_fmaak_f32 v2, s37, v1, 0x3ca908c9
	v_fmaak_f32 v2, v1, v2, 0xbd5c1c4e
	s_delay_alu instid0(VALU_DEP_1) | instskip(NEXT) | instid1(VALU_DEP_1)
	v_fmaak_f32 v2, v1, v2, 0x3e088382
	v_fmaak_f32 v2, v1, v2, 0xbeaaaa99
	s_delay_alu instid0(VALU_DEP_1) | instskip(NEXT) | instid1(VALU_DEP_1)
	v_mul_f32_e64 v2, |v0|, v2
	v_fma_f32 v1, v1, v2, |v0|
.LBB31_45:                              ;   in Loop: Header=BB31_23 Depth=1
	s_or_b32 exec_lo, exec_lo, s24
	s_delay_alu instid0(VALU_DEP_1) | instskip(SKIP_2) | instid1(VALU_DEP_2)
	v_bfi_b32 v0, 0x7fffffff, v1, v0
	v_lshl_add_u64 v[54:55], v[48:49], 1, s[20:21]
	s_and_not1_b32 vcc_lo, exec_lo, s27
	v_mul_f32_e32 v71, s31, v0
	s_cbranch_vccnz .LBB31_47
; %bb.46:                               ;   in Loop: Header=BB31_23 Depth=1
	global_load_u16 v0, v[54:55], off offset:2
	s_wait_loadcnt 0x0
	v_fma_mix_f32 v71, v64, v0, v71 op_sel_hi:[0,1,0]
.LBB31_47:                              ;   in Loop: Header=BB31_23 Depth=1
	v_add_nc_u64_e32 v[56:57], v[52:53], v[14:15]
	v_mov_b32_e32 v76, v17
	global_load_b128 v[0:3], v[56:57], off
	s_wait_loadcnt 0x0
	;;#ASMSTART
	v_dot2_f32_f16 v76, v0, v100, v76
	;;#ASMEND
	;;#ASMSTART
	v_dot2_f32_f16 v76, v1, v101, v76
	;;#ASMEND
	;;#ASMSTART
	v_dot2_f32_f16 v76, v2, v102, v76
	;;#ASMEND
	;;#ASMSTART
	v_dot2_f32_f16 v76, v3, v103, v76
	;;#ASMEND
	global_load_b128 v[72:75], v[56:57], off offset:128
	s_wait_loadcnt 0x0
	;;#ASMSTART
	v_dot2_f32_f16 v76, v72, v104, v76
	;;#ASMEND
	;;#ASMSTART
	v_dot2_f32_f16 v76, v73, v105, v76
	;;#ASMEND
	;;#ASMSTART
	v_dot2_f32_f16 v76, v74, v106, v76
	;;#ASMEND
	;;#ASMSTART
	v_dot2_f32_f16 v76, v75, v107, v76
	;;#ASMEND
	global_load_b128 v[72:75], v[56:57], off offset:256
	;; [unrolled: 14-line block ×3, first 2 shown]
	s_wait_loadcnt 0x0
	;;#ASMSTART
	v_dot2_f32_f16 v76, v72, v112, v76
	;;#ASMEND
	;;#ASMSTART
	v_dot2_f32_f16 v76, v73, v113, v76
	;;#ASMEND
	;; [unrolled: 3-line block ×4, first 2 shown]
	ds_bpermute_b32 v72, v47, v76
	s_wait_dscnt 0x0
	v_add_f32_e32 v72, v76, v72
	ds_bpermute_b32 v73, v80, v72
	s_wait_dscnt 0x0
	v_add_f32_e32 v72, v72, v73
	;; [unrolled: 3-line block ×3, first 2 shown]
                                        ; implicit-def: $vgpr73
	s_delay_alu instid0(VALU_DEP_1) | instskip(SKIP_2) | instid1(SALU_CYCLE_1)
	v_cmp_ngt_f32_e64 s24, 0x3f200000, |v72|
	s_wait_xcnt 0x0
	s_and_saveexec_b32 s40, s24
	s_xor_b32 s24, exec_lo, s40
	s_cbranch_execz .LBB31_49
; %bb.48:                               ;   in Loop: Header=BB31_23 Depth=1
	v_add_f32_e64 v73, |v72|, |v72|
	s_delay_alu instid0(VALU_DEP_1) | instskip(SKIP_1) | instid1(VALU_DEP_2)
	v_mul_f32_e32 v74, 0x3fb8aa3b, v73
	v_cmp_ngt_f32_e32 vcc_lo, 0xc2ce8ed0, v73
	v_rndne_f32_e32 v75, v74
	v_fma_f32 v76, 0x3fb8aa3b, v73, -v74
	s_delay_alu instid0(VALU_DEP_2) | instskip(NEXT) | instid1(VALU_DEP_2)
	v_sub_f32_e32 v74, v74, v75
	v_fmac_f32_e32 v76, 0x32a5705f, v73
	v_cvt_i32_f32_e32 v75, v75
	s_delay_alu instid0(VALU_DEP_2) | instskip(NEXT) | instid1(VALU_DEP_1)
	v_add_f32_e32 v74, v74, v76
	v_exp_f32_e32 v74, v74
	v_nop
	s_delay_alu instid0(TRANS32_DEP_1) | instskip(NEXT) | instid1(VALU_DEP_1)
	v_ldexp_f32 v74, v74, v75
	v_cndmask_b32_e32 v74, 0, v74, vcc_lo
	v_cmp_nlt_f32_e32 vcc_lo, 0x42b17218, v73
	s_delay_alu instid0(VALU_DEP_2) | instskip(NEXT) | instid1(VALU_DEP_1)
	v_cndmask_b32_e32 v73, 0x7f800000, v74, vcc_lo
	v_add_f32_e32 v73, 1.0, v73
	s_delay_alu instid0(VALU_DEP_1) | instskip(SKIP_1) | instid1(TRANS32_DEP_1)
	v_rcp_f32_e32 v73, v73
	v_nop
	v_fma_f32 v73, v73, -2.0, 1.0
.LBB31_49:                              ;   in Loop: Header=BB31_23 Depth=1
	s_and_not1_saveexec_b32 s24, s24
	s_cbranch_execz .LBB31_51
; %bb.50:                               ;   in Loop: Header=BB31_23 Depth=1
	v_mul_f32_e32 v73, v72, v72
	s_delay_alu instid0(VALU_DEP_1) | instskip(NEXT) | instid1(VALU_DEP_1)
	v_fmaak_f32 v74, s37, v73, 0x3ca908c9
	v_fmaak_f32 v74, v73, v74, 0xbd5c1c4e
	s_delay_alu instid0(VALU_DEP_1) | instskip(NEXT) | instid1(VALU_DEP_1)
	v_fmaak_f32 v74, v73, v74, 0x3e088382
	v_fmaak_f32 v74, v73, v74, 0xbeaaaa99
	s_delay_alu instid0(VALU_DEP_1) | instskip(NEXT) | instid1(VALU_DEP_1)
	v_mul_f32_e64 v74, |v72|, v74
	v_fma_f32 v73, v73, v74, |v72|
.LBB31_51:                              ;   in Loop: Header=BB31_23 Depth=1
	s_or_b32 exec_lo, exec_lo, s24
	s_delay_alu instid0(VALU_DEP_1) | instskip(SKIP_1) | instid1(VALU_DEP_1)
	v_bfi_b32 v72, 0x7fffffff, v73, v72
	s_and_not1_b32 vcc_lo, exec_lo, s23
	v_mul_f32_e32 v72, s31, v72
	s_cbranch_vccnz .LBB31_53
; %bb.52:                               ;   in Loop: Header=BB31_23 Depth=1
	global_load_u16 v73, v8, s[20:21] offset:4 scale_offset
	s_wait_loadcnt 0x0
	v_fma_mix_f32 v72, v64, v73, v72 op_sel_hi:[0,1,0]
.LBB31_53:                              ;   in Loop: Header=BB31_23 Depth=1
	v_mov_b32_e32 v73, v17
	;;#ASMSTART
	v_dot2_f32_f16 v73, v0, v84, v73
	;;#ASMEND
	;;#ASMSTART
	v_dot2_f32_f16 v73, v1, v85, v73
	;;#ASMEND
	;;#ASMSTART
	v_dot2_f32_f16 v73, v2, v86, v73
	;;#ASMEND
	;;#ASMSTART
	v_dot2_f32_f16 v73, v3, v87, v73
	;;#ASMEND
	global_load_b128 v[0:3], v[56:57], off offset:128
	s_wait_loadcnt 0x0
	;;#ASMSTART
	v_dot2_f32_f16 v73, v0, v88, v73
	;;#ASMEND
	;;#ASMSTART
	v_dot2_f32_f16 v73, v1, v89, v73
	;;#ASMEND
	;;#ASMSTART
	v_dot2_f32_f16 v73, v2, v90, v73
	;;#ASMEND
	;;#ASMSTART
	v_dot2_f32_f16 v73, v3, v91, v73
	;;#ASMEND
	global_load_b128 v[0:3], v[56:57], off offset:256
	s_wait_loadcnt 0x0
	;; [unrolled: 14-line block ×3, first 2 shown]
	;;#ASMSTART
	v_dot2_f32_f16 v73, v0, v96, v73
	;;#ASMEND
	;;#ASMSTART
	v_dot2_f32_f16 v73, v1, v97, v73
	;;#ASMEND
	;;#ASMSTART
	v_dot2_f32_f16 v73, v2, v98, v73
	;;#ASMEND
	;;#ASMSTART
	v_dot2_f32_f16 v73, v3, v99, v73
	;;#ASMEND
	ds_bpermute_b32 v0, v47, v73
	s_wait_dscnt 0x0
	v_add_f32_e32 v0, v73, v0
	ds_bpermute_b32 v1, v80, v0
	s_wait_dscnt 0x0
	v_add_f32_e32 v0, v0, v1
	ds_bpermute_b32 v1, v81, v0
	s_wait_dscnt 0x0
	v_add_f32_e32 v0, v0, v1
                                        ; implicit-def: $vgpr1
	s_delay_alu instid0(VALU_DEP_1) | instskip(SKIP_2) | instid1(SALU_CYCLE_1)
	v_cmp_ngt_f32_e64 s24, 0x3f200000, |v0|
	s_wait_xcnt 0x0
	s_and_saveexec_b32 s40, s24
	s_xor_b32 s24, exec_lo, s40
	s_cbranch_execz .LBB31_55
; %bb.54:                               ;   in Loop: Header=BB31_23 Depth=1
	v_add_f32_e64 v1, |v0|, |v0|
	s_delay_alu instid0(VALU_DEP_1) | instskip(SKIP_1) | instid1(VALU_DEP_2)
	v_mul_f32_e32 v2, 0x3fb8aa3b, v1
	v_cmp_ngt_f32_e32 vcc_lo, 0xc2ce8ed0, v1
	v_rndne_f32_e32 v3, v2
	v_fma_f32 v56, 0x3fb8aa3b, v1, -v2
	s_delay_alu instid0(VALU_DEP_2) | instskip(NEXT) | instid1(VALU_DEP_2)
	v_sub_f32_e32 v2, v2, v3
	v_fmac_f32_e32 v56, 0x32a5705f, v1
	v_cvt_i32_f32_e32 v3, v3
	s_delay_alu instid0(VALU_DEP_2) | instskip(NEXT) | instid1(VALU_DEP_1)
	v_add_f32_e32 v2, v2, v56
	v_exp_f32_e32 v2, v2
	v_nop
	s_delay_alu instid0(TRANS32_DEP_1) | instskip(NEXT) | instid1(VALU_DEP_1)
	v_ldexp_f32 v2, v2, v3
	v_cndmask_b32_e32 v2, 0, v2, vcc_lo
	v_cmp_nlt_f32_e32 vcc_lo, 0x42b17218, v1
	s_delay_alu instid0(VALU_DEP_2) | instskip(NEXT) | instid1(VALU_DEP_1)
	v_cndmask_b32_e32 v1, 0x7f800000, v2, vcc_lo
	v_add_f32_e32 v1, 1.0, v1
	s_delay_alu instid0(VALU_DEP_1) | instskip(SKIP_1) | instid1(TRANS32_DEP_1)
	v_rcp_f32_e32 v1, v1
	v_nop
	v_fma_f32 v1, v1, -2.0, 1.0
.LBB31_55:                              ;   in Loop: Header=BB31_23 Depth=1
	s_and_not1_saveexec_b32 s24, s24
	s_cbranch_execz .LBB31_57
; %bb.56:                               ;   in Loop: Header=BB31_23 Depth=1
	v_mul_f32_e32 v1, v0, v0
	s_delay_alu instid0(VALU_DEP_1) | instskip(NEXT) | instid1(VALU_DEP_1)
	v_fmaak_f32 v2, s37, v1, 0x3ca908c9
	v_fmaak_f32 v2, v1, v2, 0xbd5c1c4e
	s_delay_alu instid0(VALU_DEP_1) | instskip(NEXT) | instid1(VALU_DEP_1)
	v_fmaak_f32 v2, v1, v2, 0x3e088382
	v_fmaak_f32 v2, v1, v2, 0xbeaaaa99
	s_delay_alu instid0(VALU_DEP_1) | instskip(NEXT) | instid1(VALU_DEP_1)
	v_mul_f32_e64 v2, |v0|, v2
	v_fma_f32 v1, v1, v2, |v0|
.LBB31_57:                              ;   in Loop: Header=BB31_23 Depth=1
	s_or_b32 exec_lo, exec_lo, s24
	s_delay_alu instid0(VALU_DEP_1) | instskip(SKIP_1) | instid1(VALU_DEP_1)
	v_bfi_b32 v0, 0x7fffffff, v1, v0
	s_and_not1_b32 vcc_lo, exec_lo, s27
	v_mul_f32_e32 v73, s31, v0
	s_cbranch_vccnz .LBB31_59
; %bb.58:                               ;   in Loop: Header=BB31_23 Depth=1
	global_load_u16 v0, v[54:55], off offset:4
	s_wait_loadcnt 0x0
	v_fma_mix_f32 v73, v64, v0, v73 op_sel_hi:[0,1,0]
.LBB31_59:                              ;   in Loop: Header=BB31_23 Depth=1
	v_add_nc_u64_e32 v[56:57], v[52:53], v[18:19]
	v_mov_b32_e32 v78, v17
	global_load_b128 v[0:3], v[56:57], off
	s_wait_loadcnt 0x0
	;;#ASMSTART
	v_dot2_f32_f16 v78, v0, v100, v78
	;;#ASMEND
	;;#ASMSTART
	v_dot2_f32_f16 v78, v1, v101, v78
	;;#ASMEND
	;;#ASMSTART
	v_dot2_f32_f16 v78, v2, v102, v78
	;;#ASMEND
	;;#ASMSTART
	v_dot2_f32_f16 v78, v3, v103, v78
	;;#ASMEND
	global_load_b128 v[74:77], v[56:57], off offset:128
	s_wait_loadcnt 0x0
	;;#ASMSTART
	v_dot2_f32_f16 v78, v74, v104, v78
	;;#ASMEND
	;;#ASMSTART
	v_dot2_f32_f16 v78, v75, v105, v78
	;;#ASMEND
	;;#ASMSTART
	v_dot2_f32_f16 v78, v76, v106, v78
	;;#ASMEND
	;;#ASMSTART
	v_dot2_f32_f16 v78, v77, v107, v78
	;;#ASMEND
	global_load_b128 v[74:77], v[56:57], off offset:256
	;; [unrolled: 14-line block ×3, first 2 shown]
	s_wait_loadcnt 0x0
	;;#ASMSTART
	v_dot2_f32_f16 v78, v74, v112, v78
	;;#ASMEND
	;;#ASMSTART
	v_dot2_f32_f16 v78, v75, v113, v78
	;;#ASMEND
	;;#ASMSTART
	v_dot2_f32_f16 v78, v76, v114, v78
	;;#ASMEND
	;;#ASMSTART
	v_dot2_f32_f16 v78, v77, v115, v78
	;;#ASMEND
	ds_bpermute_b32 v74, v47, v78
	s_wait_dscnt 0x0
	v_add_f32_e32 v74, v78, v74
	ds_bpermute_b32 v75, v80, v74
	s_wait_dscnt 0x0
	v_add_f32_e32 v74, v74, v75
	;; [unrolled: 3-line block ×3, first 2 shown]
                                        ; implicit-def: $vgpr75
	s_delay_alu instid0(VALU_DEP_1) | instskip(SKIP_2) | instid1(SALU_CYCLE_1)
	v_cmp_ngt_f32_e64 s24, 0x3f200000, |v74|
	s_wait_xcnt 0x0
	s_and_saveexec_b32 s40, s24
	s_xor_b32 s24, exec_lo, s40
	s_cbranch_execz .LBB31_61
; %bb.60:                               ;   in Loop: Header=BB31_23 Depth=1
	v_add_f32_e64 v75, |v74|, |v74|
	s_delay_alu instid0(VALU_DEP_1) | instskip(SKIP_1) | instid1(VALU_DEP_2)
	v_mul_f32_e32 v76, 0x3fb8aa3b, v75
	v_cmp_ngt_f32_e32 vcc_lo, 0xc2ce8ed0, v75
	v_rndne_f32_e32 v77, v76
	v_fma_f32 v78, 0x3fb8aa3b, v75, -v76
	s_delay_alu instid0(VALU_DEP_2) | instskip(NEXT) | instid1(VALU_DEP_2)
	v_sub_f32_e32 v76, v76, v77
	v_fmac_f32_e32 v78, 0x32a5705f, v75
	v_cvt_i32_f32_e32 v77, v77
	s_delay_alu instid0(VALU_DEP_2) | instskip(NEXT) | instid1(VALU_DEP_1)
	v_add_f32_e32 v76, v76, v78
	v_exp_f32_e32 v76, v76
	v_nop
	s_delay_alu instid0(TRANS32_DEP_1) | instskip(NEXT) | instid1(VALU_DEP_1)
	v_ldexp_f32 v76, v76, v77
	v_cndmask_b32_e32 v76, 0, v76, vcc_lo
	v_cmp_nlt_f32_e32 vcc_lo, 0x42b17218, v75
	s_delay_alu instid0(VALU_DEP_2) | instskip(NEXT) | instid1(VALU_DEP_1)
	v_cndmask_b32_e32 v75, 0x7f800000, v76, vcc_lo
	v_add_f32_e32 v75, 1.0, v75
	s_delay_alu instid0(VALU_DEP_1) | instskip(SKIP_1) | instid1(TRANS32_DEP_1)
	v_rcp_f32_e32 v75, v75
	v_nop
	v_fma_f32 v75, v75, -2.0, 1.0
.LBB31_61:                              ;   in Loop: Header=BB31_23 Depth=1
	s_and_not1_saveexec_b32 s24, s24
	s_cbranch_execz .LBB31_63
; %bb.62:                               ;   in Loop: Header=BB31_23 Depth=1
	v_mul_f32_e32 v75, v74, v74
	s_delay_alu instid0(VALU_DEP_1) | instskip(NEXT) | instid1(VALU_DEP_1)
	v_fmaak_f32 v76, s37, v75, 0x3ca908c9
	v_fmaak_f32 v76, v75, v76, 0xbd5c1c4e
	s_delay_alu instid0(VALU_DEP_1) | instskip(NEXT) | instid1(VALU_DEP_1)
	v_fmaak_f32 v76, v75, v76, 0x3e088382
	v_fmaak_f32 v76, v75, v76, 0xbeaaaa99
	s_delay_alu instid0(VALU_DEP_1) | instskip(NEXT) | instid1(VALU_DEP_1)
	v_mul_f32_e64 v76, |v74|, v76
	v_fma_f32 v75, v75, v76, |v74|
.LBB31_63:                              ;   in Loop: Header=BB31_23 Depth=1
	s_or_b32 exec_lo, exec_lo, s24
	s_delay_alu instid0(VALU_DEP_1) | instskip(SKIP_1) | instid1(VALU_DEP_1)
	v_bfi_b32 v74, 0x7fffffff, v75, v74
	s_and_not1_b32 vcc_lo, exec_lo, s23
	v_mul_f32_e32 v74, s31, v74
	s_cbranch_vccnz .LBB31_65
; %bb.64:                               ;   in Loop: Header=BB31_23 Depth=1
	global_load_u16 v75, v8, s[20:21] offset:6 scale_offset
	s_wait_loadcnt 0x0
	v_fma_mix_f32 v74, v64, v75, v74 op_sel_hi:[0,1,0]
.LBB31_65:                              ;   in Loop: Header=BB31_23 Depth=1
	v_mov_b32_e32 v75, v17
	;;#ASMSTART
	v_dot2_f32_f16 v75, v0, v84, v75
	;;#ASMEND
	;;#ASMSTART
	v_dot2_f32_f16 v75, v1, v85, v75
	;;#ASMEND
	;;#ASMSTART
	v_dot2_f32_f16 v75, v2, v86, v75
	;;#ASMEND
	;;#ASMSTART
	v_dot2_f32_f16 v75, v3, v87, v75
	;;#ASMEND
	global_load_b128 v[0:3], v[56:57], off offset:128
	s_wait_loadcnt 0x0
	;;#ASMSTART
	v_dot2_f32_f16 v75, v0, v88, v75
	;;#ASMEND
	;;#ASMSTART
	v_dot2_f32_f16 v75, v1, v89, v75
	;;#ASMEND
	;;#ASMSTART
	v_dot2_f32_f16 v75, v2, v90, v75
	;;#ASMEND
	;;#ASMSTART
	v_dot2_f32_f16 v75, v3, v91, v75
	;;#ASMEND
	global_load_b128 v[0:3], v[56:57], off offset:256
	s_wait_loadcnt 0x0
	;; [unrolled: 14-line block ×3, first 2 shown]
	;;#ASMSTART
	v_dot2_f32_f16 v75, v0, v96, v75
	;;#ASMEND
	;;#ASMSTART
	v_dot2_f32_f16 v75, v1, v97, v75
	;;#ASMEND
	;; [unrolled: 3-line block ×4, first 2 shown]
	ds_bpermute_b32 v0, v47, v75
	s_wait_dscnt 0x0
	v_add_f32_e32 v0, v75, v0
	ds_bpermute_b32 v1, v80, v0
	s_wait_dscnt 0x0
	v_add_f32_e32 v0, v0, v1
	;; [unrolled: 3-line block ×3, first 2 shown]
                                        ; implicit-def: $vgpr1
	s_delay_alu instid0(VALU_DEP_1) | instskip(SKIP_2) | instid1(SALU_CYCLE_1)
	v_cmp_ngt_f32_e64 s24, 0x3f200000, |v0|
	s_wait_xcnt 0x0
	s_and_saveexec_b32 s40, s24
	s_xor_b32 s24, exec_lo, s40
	s_cbranch_execz .LBB31_67
; %bb.66:                               ;   in Loop: Header=BB31_23 Depth=1
	v_add_f32_e64 v1, |v0|, |v0|
	s_delay_alu instid0(VALU_DEP_1) | instskip(SKIP_1) | instid1(VALU_DEP_2)
	v_mul_f32_e32 v2, 0x3fb8aa3b, v1
	v_cmp_ngt_f32_e32 vcc_lo, 0xc2ce8ed0, v1
	v_rndne_f32_e32 v3, v2
	v_fma_f32 v56, 0x3fb8aa3b, v1, -v2
	s_delay_alu instid0(VALU_DEP_2) | instskip(NEXT) | instid1(VALU_DEP_2)
	v_sub_f32_e32 v2, v2, v3
	v_fmac_f32_e32 v56, 0x32a5705f, v1
	v_cvt_i32_f32_e32 v3, v3
	s_delay_alu instid0(VALU_DEP_2) | instskip(NEXT) | instid1(VALU_DEP_1)
	v_add_f32_e32 v2, v2, v56
	v_exp_f32_e32 v2, v2
	v_nop
	s_delay_alu instid0(TRANS32_DEP_1) | instskip(NEXT) | instid1(VALU_DEP_1)
	v_ldexp_f32 v2, v2, v3
	v_cndmask_b32_e32 v2, 0, v2, vcc_lo
	v_cmp_nlt_f32_e32 vcc_lo, 0x42b17218, v1
	s_delay_alu instid0(VALU_DEP_2) | instskip(NEXT) | instid1(VALU_DEP_1)
	v_cndmask_b32_e32 v1, 0x7f800000, v2, vcc_lo
	v_add_f32_e32 v1, 1.0, v1
	s_delay_alu instid0(VALU_DEP_1) | instskip(SKIP_1) | instid1(TRANS32_DEP_1)
	v_rcp_f32_e32 v1, v1
	v_nop
	v_fma_f32 v1, v1, -2.0, 1.0
.LBB31_67:                              ;   in Loop: Header=BB31_23 Depth=1
	s_and_not1_saveexec_b32 s24, s24
	s_cbranch_execz .LBB31_69
; %bb.68:                               ;   in Loop: Header=BB31_23 Depth=1
	v_mul_f32_e32 v1, v0, v0
	s_delay_alu instid0(VALU_DEP_1) | instskip(NEXT) | instid1(VALU_DEP_1)
	v_fmaak_f32 v2, s37, v1, 0x3ca908c9
	v_fmaak_f32 v2, v1, v2, 0xbd5c1c4e
	s_delay_alu instid0(VALU_DEP_1) | instskip(NEXT) | instid1(VALU_DEP_1)
	v_fmaak_f32 v2, v1, v2, 0x3e088382
	v_fmaak_f32 v2, v1, v2, 0xbeaaaa99
	s_delay_alu instid0(VALU_DEP_1) | instskip(NEXT) | instid1(VALU_DEP_1)
	v_mul_f32_e64 v2, |v0|, v2
	v_fma_f32 v1, v1, v2, |v0|
.LBB31_69:                              ;   in Loop: Header=BB31_23 Depth=1
	s_or_b32 exec_lo, exec_lo, s24
	s_delay_alu instid0(VALU_DEP_1) | instskip(SKIP_1) | instid1(VALU_DEP_1)
	v_bfi_b32 v0, 0x7fffffff, v1, v0
	s_and_not1_b32 vcc_lo, exec_lo, s27
	v_mul_f32_e32 v75, s31, v0
	s_cbranch_vccnz .LBB31_71
; %bb.70:                               ;   in Loop: Header=BB31_23 Depth=1
	global_load_u16 v0, v[54:55], off offset:6
	s_wait_loadcnt 0x0
	v_fma_mix_f32 v75, v64, v0, v75 op_sel_hi:[0,1,0]
.LBB31_71:                              ;   in Loop: Header=BB31_23 Depth=1
	v_add_nc_u64_e32 v[56:57], v[52:53], v[22:23]
	v_mov_b32_e32 v82, v17
	global_load_b128 v[0:3], v[56:57], off
	s_wait_loadcnt 0x0
	;;#ASMSTART
	v_dot2_f32_f16 v82, v0, v100, v82
	;;#ASMEND
	;;#ASMSTART
	v_dot2_f32_f16 v82, v1, v101, v82
	;;#ASMEND
	;;#ASMSTART
	v_dot2_f32_f16 v82, v2, v102, v82
	;;#ASMEND
	;;#ASMSTART
	v_dot2_f32_f16 v82, v3, v103, v82
	;;#ASMEND
	global_load_b128 v[76:79], v[56:57], off offset:128
	s_wait_loadcnt 0x0
	;;#ASMSTART
	v_dot2_f32_f16 v82, v76, v104, v82
	;;#ASMEND
	;;#ASMSTART
	v_dot2_f32_f16 v82, v77, v105, v82
	;;#ASMEND
	;;#ASMSTART
	v_dot2_f32_f16 v82, v78, v106, v82
	;;#ASMEND
	;;#ASMSTART
	v_dot2_f32_f16 v82, v79, v107, v82
	;;#ASMEND
	global_load_b128 v[76:79], v[56:57], off offset:256
	;; [unrolled: 14-line block ×3, first 2 shown]
	s_wait_loadcnt 0x0
	;;#ASMSTART
	v_dot2_f32_f16 v82, v76, v112, v82
	;;#ASMEND
	;;#ASMSTART
	v_dot2_f32_f16 v82, v77, v113, v82
	;;#ASMEND
	;; [unrolled: 3-line block ×4, first 2 shown]
	ds_bpermute_b32 v76, v47, v82
	s_wait_dscnt 0x0
	v_add_f32_e32 v76, v82, v76
	ds_bpermute_b32 v77, v80, v76
	s_wait_dscnt 0x0
	v_add_f32_e32 v76, v76, v77
	;; [unrolled: 3-line block ×3, first 2 shown]
                                        ; implicit-def: $vgpr77
	s_delay_alu instid0(VALU_DEP_1) | instskip(SKIP_2) | instid1(SALU_CYCLE_1)
	v_cmp_ngt_f32_e64 s24, 0x3f200000, |v76|
	s_wait_xcnt 0x0
	s_and_saveexec_b32 s40, s24
	s_xor_b32 s24, exec_lo, s40
	s_cbranch_execz .LBB31_73
; %bb.72:                               ;   in Loop: Header=BB31_23 Depth=1
	v_add_f32_e64 v77, |v76|, |v76|
	s_delay_alu instid0(VALU_DEP_1) | instskip(SKIP_1) | instid1(VALU_DEP_2)
	v_mul_f32_e32 v78, 0x3fb8aa3b, v77
	v_cmp_ngt_f32_e32 vcc_lo, 0xc2ce8ed0, v77
	v_rndne_f32_e32 v79, v78
	v_fma_f32 v82, 0x3fb8aa3b, v77, -v78
	s_delay_alu instid0(VALU_DEP_2) | instskip(NEXT) | instid1(VALU_DEP_2)
	v_sub_f32_e32 v78, v78, v79
	v_fmac_f32_e32 v82, 0x32a5705f, v77
	v_cvt_i32_f32_e32 v79, v79
	s_delay_alu instid0(VALU_DEP_2) | instskip(NEXT) | instid1(VALU_DEP_1)
	v_add_f32_e32 v78, v78, v82
	v_exp_f32_e32 v78, v78
	v_nop
	s_delay_alu instid0(TRANS32_DEP_1) | instskip(NEXT) | instid1(VALU_DEP_1)
	v_ldexp_f32 v78, v78, v79
	v_cndmask_b32_e32 v78, 0, v78, vcc_lo
	v_cmp_nlt_f32_e32 vcc_lo, 0x42b17218, v77
	s_delay_alu instid0(VALU_DEP_2) | instskip(NEXT) | instid1(VALU_DEP_1)
	v_cndmask_b32_e32 v77, 0x7f800000, v78, vcc_lo
	v_add_f32_e32 v77, 1.0, v77
	s_delay_alu instid0(VALU_DEP_1) | instskip(SKIP_1) | instid1(TRANS32_DEP_1)
	v_rcp_f32_e32 v77, v77
	v_nop
	v_fma_f32 v77, v77, -2.0, 1.0
.LBB31_73:                              ;   in Loop: Header=BB31_23 Depth=1
	s_and_not1_saveexec_b32 s24, s24
	s_cbranch_execz .LBB31_75
; %bb.74:                               ;   in Loop: Header=BB31_23 Depth=1
	v_mul_f32_e32 v77, v76, v76
	s_delay_alu instid0(VALU_DEP_1) | instskip(NEXT) | instid1(VALU_DEP_1)
	v_fmaak_f32 v78, s37, v77, 0x3ca908c9
	v_fmaak_f32 v78, v77, v78, 0xbd5c1c4e
	s_delay_alu instid0(VALU_DEP_1) | instskip(NEXT) | instid1(VALU_DEP_1)
	v_fmaak_f32 v78, v77, v78, 0x3e088382
	v_fmaak_f32 v78, v77, v78, 0xbeaaaa99
	s_delay_alu instid0(VALU_DEP_1) | instskip(NEXT) | instid1(VALU_DEP_1)
	v_mul_f32_e64 v78, |v76|, v78
	v_fma_f32 v77, v77, v78, |v76|
.LBB31_75:                              ;   in Loop: Header=BB31_23 Depth=1
	s_or_b32 exec_lo, exec_lo, s24
	s_delay_alu instid0(VALU_DEP_1) | instskip(SKIP_1) | instid1(VALU_DEP_1)
	v_bfi_b32 v76, 0x7fffffff, v77, v76
	s_and_not1_b32 vcc_lo, exec_lo, s23
	v_mul_f32_e32 v76, s31, v76
	s_cbranch_vccnz .LBB31_77
; %bb.76:                               ;   in Loop: Header=BB31_23 Depth=1
	global_load_u16 v77, v8, s[20:21] offset:8 scale_offset
	s_wait_loadcnt 0x0
	v_fma_mix_f32 v76, v64, v77, v76 op_sel_hi:[0,1,0]
.LBB31_77:                              ;   in Loop: Header=BB31_23 Depth=1
	v_mov_b32_e32 v77, v17
	;;#ASMSTART
	v_dot2_f32_f16 v77, v0, v84, v77
	;;#ASMEND
	;;#ASMSTART
	v_dot2_f32_f16 v77, v1, v85, v77
	;;#ASMEND
	;;#ASMSTART
	v_dot2_f32_f16 v77, v2, v86, v77
	;;#ASMEND
	;;#ASMSTART
	v_dot2_f32_f16 v77, v3, v87, v77
	;;#ASMEND
	global_load_b128 v[0:3], v[56:57], off offset:128
	s_wait_loadcnt 0x0
	;;#ASMSTART
	v_dot2_f32_f16 v77, v0, v88, v77
	;;#ASMEND
	;;#ASMSTART
	v_dot2_f32_f16 v77, v1, v89, v77
	;;#ASMEND
	;;#ASMSTART
	v_dot2_f32_f16 v77, v2, v90, v77
	;;#ASMEND
	;;#ASMSTART
	v_dot2_f32_f16 v77, v3, v91, v77
	;;#ASMEND
	global_load_b128 v[0:3], v[56:57], off offset:256
	s_wait_loadcnt 0x0
	;; [unrolled: 14-line block ×3, first 2 shown]
	;;#ASMSTART
	v_dot2_f32_f16 v77, v0, v96, v77
	;;#ASMEND
	;;#ASMSTART
	v_dot2_f32_f16 v77, v1, v97, v77
	;;#ASMEND
	;; [unrolled: 3-line block ×4, first 2 shown]
	ds_bpermute_b32 v0, v47, v77
	s_wait_dscnt 0x0
	v_add_f32_e32 v0, v77, v0
	ds_bpermute_b32 v1, v80, v0
	s_wait_dscnt 0x0
	v_add_f32_e32 v0, v0, v1
	;; [unrolled: 3-line block ×3, first 2 shown]
                                        ; implicit-def: $vgpr1
	s_delay_alu instid0(VALU_DEP_1) | instskip(SKIP_2) | instid1(SALU_CYCLE_1)
	v_cmp_ngt_f32_e64 s24, 0x3f200000, |v0|
	s_wait_xcnt 0x0
	s_and_saveexec_b32 s40, s24
	s_xor_b32 s24, exec_lo, s40
	s_cbranch_execz .LBB31_79
; %bb.78:                               ;   in Loop: Header=BB31_23 Depth=1
	v_add_f32_e64 v1, |v0|, |v0|
	s_delay_alu instid0(VALU_DEP_1) | instskip(SKIP_1) | instid1(VALU_DEP_2)
	v_mul_f32_e32 v2, 0x3fb8aa3b, v1
	v_cmp_ngt_f32_e32 vcc_lo, 0xc2ce8ed0, v1
	v_rndne_f32_e32 v3, v2
	v_fma_f32 v56, 0x3fb8aa3b, v1, -v2
	s_delay_alu instid0(VALU_DEP_2) | instskip(NEXT) | instid1(VALU_DEP_2)
	v_sub_f32_e32 v2, v2, v3
	v_fmac_f32_e32 v56, 0x32a5705f, v1
	v_cvt_i32_f32_e32 v3, v3
	s_delay_alu instid0(VALU_DEP_2) | instskip(NEXT) | instid1(VALU_DEP_1)
	v_add_f32_e32 v2, v2, v56
	v_exp_f32_e32 v2, v2
	v_nop
	s_delay_alu instid0(TRANS32_DEP_1) | instskip(NEXT) | instid1(VALU_DEP_1)
	v_ldexp_f32 v2, v2, v3
	v_cndmask_b32_e32 v2, 0, v2, vcc_lo
	v_cmp_nlt_f32_e32 vcc_lo, 0x42b17218, v1
	s_delay_alu instid0(VALU_DEP_2) | instskip(NEXT) | instid1(VALU_DEP_1)
	v_cndmask_b32_e32 v1, 0x7f800000, v2, vcc_lo
	v_add_f32_e32 v1, 1.0, v1
	s_delay_alu instid0(VALU_DEP_1) | instskip(SKIP_1) | instid1(TRANS32_DEP_1)
	v_rcp_f32_e32 v1, v1
	v_nop
	v_fma_f32 v1, v1, -2.0, 1.0
.LBB31_79:                              ;   in Loop: Header=BB31_23 Depth=1
	s_and_not1_saveexec_b32 s24, s24
	s_cbranch_execz .LBB31_81
; %bb.80:                               ;   in Loop: Header=BB31_23 Depth=1
	v_mul_f32_e32 v1, v0, v0
	s_delay_alu instid0(VALU_DEP_1) | instskip(NEXT) | instid1(VALU_DEP_1)
	v_fmaak_f32 v2, s37, v1, 0x3ca908c9
	v_fmaak_f32 v2, v1, v2, 0xbd5c1c4e
	s_delay_alu instid0(VALU_DEP_1) | instskip(NEXT) | instid1(VALU_DEP_1)
	v_fmaak_f32 v2, v1, v2, 0x3e088382
	v_fmaak_f32 v2, v1, v2, 0xbeaaaa99
	s_delay_alu instid0(VALU_DEP_1) | instskip(NEXT) | instid1(VALU_DEP_1)
	v_mul_f32_e64 v2, |v0|, v2
	v_fma_f32 v1, v1, v2, |v0|
.LBB31_81:                              ;   in Loop: Header=BB31_23 Depth=1
	s_or_b32 exec_lo, exec_lo, s24
	s_delay_alu instid0(VALU_DEP_1) | instskip(SKIP_1) | instid1(VALU_DEP_1)
	v_bfi_b32 v0, 0x7fffffff, v1, v0
	s_and_not1_b32 vcc_lo, exec_lo, s27
	v_mul_f32_e32 v77, s31, v0
	s_cbranch_vccnz .LBB31_83
; %bb.82:                               ;   in Loop: Header=BB31_23 Depth=1
	global_load_u16 v0, v[54:55], off offset:8
	s_wait_loadcnt 0x0
	v_fma_mix_f32 v77, v64, v0, v77 op_sel_hi:[0,1,0]
.LBB31_83:                              ;   in Loop: Header=BB31_23 Depth=1
	v_add_nc_u64_e32 v[56:57], v[52:53], v[24:25]
	v_mov_b32_e32 v79, v17
	global_load_b128 v[0:3], v[56:57], off
	s_wait_loadcnt 0x0
	;;#ASMSTART
	v_dot2_f32_f16 v79, v0, v100, v79
	;;#ASMEND
	;;#ASMSTART
	v_dot2_f32_f16 v79, v1, v101, v79
	;;#ASMEND
	;;#ASMSTART
	v_dot2_f32_f16 v79, v2, v102, v79
	;;#ASMEND
	;;#ASMSTART
	v_dot2_f32_f16 v79, v3, v103, v79
	;;#ASMEND
	global_load_b128 v[116:119], v[56:57], off offset:128
	s_wait_loadcnt 0x0
	;;#ASMSTART
	v_dot2_f32_f16 v79, v116, v104, v79
	;;#ASMEND
	;;#ASMSTART
	v_dot2_f32_f16 v79, v117, v105, v79
	;;#ASMEND
	;;#ASMSTART
	v_dot2_f32_f16 v79, v118, v106, v79
	;;#ASMEND
	;;#ASMSTART
	v_dot2_f32_f16 v79, v119, v107, v79
	;;#ASMEND
	global_load_b128 v[116:119], v[56:57], off offset:256
	;; [unrolled: 14-line block ×3, first 2 shown]
	s_wait_loadcnt 0x0
	;;#ASMSTART
	v_dot2_f32_f16 v79, v116, v112, v79
	;;#ASMEND
	;;#ASMSTART
	v_dot2_f32_f16 v79, v117, v113, v79
	;;#ASMEND
	;; [unrolled: 3-line block ×4, first 2 shown]
	ds_bpermute_b32 v78, v47, v79
	s_wait_dscnt 0x0
	v_add_f32_e32 v78, v79, v78
	ds_bpermute_b32 v79, v80, v78
	s_wait_dscnt 0x0
	v_add_f32_e32 v78, v78, v79
	;; [unrolled: 3-line block ×3, first 2 shown]
                                        ; implicit-def: $vgpr79
	s_delay_alu instid0(VALU_DEP_1) | instskip(SKIP_2) | instid1(SALU_CYCLE_1)
	v_cmp_ngt_f32_e64 s24, 0x3f200000, |v78|
	s_wait_xcnt 0x0
	s_and_saveexec_b32 s40, s24
	s_xor_b32 s24, exec_lo, s40
	s_cbranch_execz .LBB31_85
; %bb.84:                               ;   in Loop: Header=BB31_23 Depth=1
	v_add_f32_e64 v79, |v78|, |v78|
	s_delay_alu instid0(VALU_DEP_1) | instskip(SKIP_1) | instid1(VALU_DEP_2)
	v_mul_f32_e32 v82, 0x3fb8aa3b, v79
	v_cmp_ngt_f32_e32 vcc_lo, 0xc2ce8ed0, v79
	v_rndne_f32_e32 v83, v82
	v_fma_f32 v116, 0x3fb8aa3b, v79, -v82
	s_delay_alu instid0(VALU_DEP_2) | instskip(NEXT) | instid1(VALU_DEP_2)
	v_sub_f32_e32 v82, v82, v83
	v_fmac_f32_e32 v116, 0x32a5705f, v79
	v_cvt_i32_f32_e32 v83, v83
	s_delay_alu instid0(VALU_DEP_2) | instskip(NEXT) | instid1(VALU_DEP_1)
	v_add_f32_e32 v82, v82, v116
	v_exp_f32_e32 v82, v82
	v_nop
	s_delay_alu instid0(TRANS32_DEP_1) | instskip(NEXT) | instid1(VALU_DEP_1)
	v_ldexp_f32 v82, v82, v83
	v_cndmask_b32_e32 v82, 0, v82, vcc_lo
	v_cmp_nlt_f32_e32 vcc_lo, 0x42b17218, v79
	s_delay_alu instid0(VALU_DEP_2) | instskip(NEXT) | instid1(VALU_DEP_1)
	v_cndmask_b32_e32 v79, 0x7f800000, v82, vcc_lo
	v_add_f32_e32 v79, 1.0, v79
	s_delay_alu instid0(VALU_DEP_1) | instskip(SKIP_1) | instid1(TRANS32_DEP_1)
	v_rcp_f32_e32 v79, v79
	v_nop
	v_fma_f32 v79, v79, -2.0, 1.0
.LBB31_85:                              ;   in Loop: Header=BB31_23 Depth=1
	s_and_not1_saveexec_b32 s24, s24
	s_cbranch_execz .LBB31_87
; %bb.86:                               ;   in Loop: Header=BB31_23 Depth=1
	v_mul_f32_e32 v79, v78, v78
	s_delay_alu instid0(VALU_DEP_1) | instskip(NEXT) | instid1(VALU_DEP_1)
	v_fmaak_f32 v82, s37, v79, 0x3ca908c9
	v_fmaak_f32 v82, v79, v82, 0xbd5c1c4e
	s_delay_alu instid0(VALU_DEP_1) | instskip(NEXT) | instid1(VALU_DEP_1)
	v_fmaak_f32 v82, v79, v82, 0x3e088382
	v_fmaak_f32 v82, v79, v82, 0xbeaaaa99
	s_delay_alu instid0(VALU_DEP_1) | instskip(NEXT) | instid1(VALU_DEP_1)
	v_mul_f32_e64 v82, |v78|, v82
	v_fma_f32 v79, v79, v82, |v78|
.LBB31_87:                              ;   in Loop: Header=BB31_23 Depth=1
	s_or_b32 exec_lo, exec_lo, s24
	s_delay_alu instid0(VALU_DEP_1) | instskip(SKIP_1) | instid1(VALU_DEP_1)
	v_bfi_b32 v78, 0x7fffffff, v79, v78
	s_and_not1_b32 vcc_lo, exec_lo, s23
	v_mul_f32_e32 v78, s31, v78
	s_cbranch_vccnz .LBB31_89
; %bb.88:                               ;   in Loop: Header=BB31_23 Depth=1
	global_load_u16 v79, v8, s[20:21] offset:10 scale_offset
	s_wait_loadcnt 0x0
	v_fma_mix_f32 v78, v64, v79, v78 op_sel_hi:[0,1,0]
.LBB31_89:                              ;   in Loop: Header=BB31_23 Depth=1
	v_mov_b32_e32 v79, v17
	;;#ASMSTART
	v_dot2_f32_f16 v79, v0, v84, v79
	;;#ASMEND
	;;#ASMSTART
	v_dot2_f32_f16 v79, v1, v85, v79
	;;#ASMEND
	;;#ASMSTART
	v_dot2_f32_f16 v79, v2, v86, v79
	;;#ASMEND
	;;#ASMSTART
	v_dot2_f32_f16 v79, v3, v87, v79
	;;#ASMEND
	global_load_b128 v[0:3], v[56:57], off offset:128
	s_wait_loadcnt 0x0
	;;#ASMSTART
	v_dot2_f32_f16 v79, v0, v88, v79
	;;#ASMEND
	;;#ASMSTART
	v_dot2_f32_f16 v79, v1, v89, v79
	;;#ASMEND
	;;#ASMSTART
	v_dot2_f32_f16 v79, v2, v90, v79
	;;#ASMEND
	;;#ASMSTART
	v_dot2_f32_f16 v79, v3, v91, v79
	;;#ASMEND
	global_load_b128 v[0:3], v[56:57], off offset:256
	s_wait_loadcnt 0x0
	;; [unrolled: 14-line block ×3, first 2 shown]
	;;#ASMSTART
	v_dot2_f32_f16 v79, v0, v96, v79
	;;#ASMEND
	;;#ASMSTART
	v_dot2_f32_f16 v79, v1, v97, v79
	;;#ASMEND
	;; [unrolled: 3-line block ×4, first 2 shown]
	ds_bpermute_b32 v0, v47, v79
	s_wait_dscnt 0x0
	v_add_f32_e32 v0, v79, v0
	ds_bpermute_b32 v1, v80, v0
	s_wait_dscnt 0x0
	v_add_f32_e32 v0, v0, v1
	ds_bpermute_b32 v1, v81, v0
	s_wait_dscnt 0x0
	v_add_f32_e32 v0, v0, v1
                                        ; implicit-def: $vgpr1
	s_delay_alu instid0(VALU_DEP_1) | instskip(SKIP_2) | instid1(SALU_CYCLE_1)
	v_cmp_ngt_f32_e64 s24, 0x3f200000, |v0|
	s_wait_xcnt 0x0
	s_and_saveexec_b32 s40, s24
	s_xor_b32 s24, exec_lo, s40
	s_cbranch_execz .LBB31_91
; %bb.90:                               ;   in Loop: Header=BB31_23 Depth=1
	v_add_f32_e64 v1, |v0|, |v0|
	s_delay_alu instid0(VALU_DEP_1) | instskip(SKIP_1) | instid1(VALU_DEP_2)
	v_mul_f32_e32 v2, 0x3fb8aa3b, v1
	v_cmp_ngt_f32_e32 vcc_lo, 0xc2ce8ed0, v1
	v_rndne_f32_e32 v3, v2
	v_fma_f32 v56, 0x3fb8aa3b, v1, -v2
	s_delay_alu instid0(VALU_DEP_2) | instskip(NEXT) | instid1(VALU_DEP_2)
	v_sub_f32_e32 v2, v2, v3
	v_fmac_f32_e32 v56, 0x32a5705f, v1
	v_cvt_i32_f32_e32 v3, v3
	s_delay_alu instid0(VALU_DEP_2) | instskip(NEXT) | instid1(VALU_DEP_1)
	v_add_f32_e32 v2, v2, v56
	v_exp_f32_e32 v2, v2
	v_nop
	s_delay_alu instid0(TRANS32_DEP_1) | instskip(NEXT) | instid1(VALU_DEP_1)
	v_ldexp_f32 v2, v2, v3
	v_cndmask_b32_e32 v2, 0, v2, vcc_lo
	v_cmp_nlt_f32_e32 vcc_lo, 0x42b17218, v1
	s_delay_alu instid0(VALU_DEP_2) | instskip(NEXT) | instid1(VALU_DEP_1)
	v_cndmask_b32_e32 v1, 0x7f800000, v2, vcc_lo
	v_add_f32_e32 v1, 1.0, v1
	s_delay_alu instid0(VALU_DEP_1) | instskip(SKIP_1) | instid1(TRANS32_DEP_1)
	v_rcp_f32_e32 v1, v1
	v_nop
	v_fma_f32 v1, v1, -2.0, 1.0
.LBB31_91:                              ;   in Loop: Header=BB31_23 Depth=1
	s_and_not1_saveexec_b32 s24, s24
	s_cbranch_execz .LBB31_93
; %bb.92:                               ;   in Loop: Header=BB31_23 Depth=1
	v_mul_f32_e32 v1, v0, v0
	s_delay_alu instid0(VALU_DEP_1) | instskip(NEXT) | instid1(VALU_DEP_1)
	v_fmaak_f32 v2, s37, v1, 0x3ca908c9
	v_fmaak_f32 v2, v1, v2, 0xbd5c1c4e
	s_delay_alu instid0(VALU_DEP_1) | instskip(NEXT) | instid1(VALU_DEP_1)
	v_fmaak_f32 v2, v1, v2, 0x3e088382
	v_fmaak_f32 v2, v1, v2, 0xbeaaaa99
	s_delay_alu instid0(VALU_DEP_1) | instskip(NEXT) | instid1(VALU_DEP_1)
	v_mul_f32_e64 v2, |v0|, v2
	v_fma_f32 v1, v1, v2, |v0|
.LBB31_93:                              ;   in Loop: Header=BB31_23 Depth=1
	s_or_b32 exec_lo, exec_lo, s24
	s_delay_alu instid0(VALU_DEP_1) | instskip(SKIP_1) | instid1(VALU_DEP_1)
	v_bfi_b32 v0, 0x7fffffff, v1, v0
	s_and_not1_b32 vcc_lo, exec_lo, s27
	v_mul_f32_e32 v79, s31, v0
	s_cbranch_vccnz .LBB31_95
; %bb.94:                               ;   in Loop: Header=BB31_23 Depth=1
	global_load_u16 v0, v[54:55], off offset:10
	s_wait_loadcnt 0x0
	v_fma_mix_f32 v79, v64, v0, v79 op_sel_hi:[0,1,0]
.LBB31_95:                              ;   in Loop: Header=BB31_23 Depth=1
	v_add_nc_u64_e32 v[56:57], v[52:53], v[26:27]
	v_mov_b32_e32 v83, v17
	global_load_b128 v[0:3], v[56:57], off
	s_wait_loadcnt 0x0
	;;#ASMSTART
	v_dot2_f32_f16 v83, v0, v100, v83
	;;#ASMEND
	;;#ASMSTART
	v_dot2_f32_f16 v83, v1, v101, v83
	;;#ASMEND
	;;#ASMSTART
	v_dot2_f32_f16 v83, v2, v102, v83
	;;#ASMEND
	;;#ASMSTART
	v_dot2_f32_f16 v83, v3, v103, v83
	;;#ASMEND
	global_load_b128 v[116:119], v[56:57], off offset:128
	s_wait_loadcnt 0x0
	;;#ASMSTART
	v_dot2_f32_f16 v83, v116, v104, v83
	;;#ASMEND
	;;#ASMSTART
	v_dot2_f32_f16 v83, v117, v105, v83
	;;#ASMEND
	;;#ASMSTART
	v_dot2_f32_f16 v83, v118, v106, v83
	;;#ASMEND
	;;#ASMSTART
	v_dot2_f32_f16 v83, v119, v107, v83
	;;#ASMEND
	global_load_b128 v[116:119], v[56:57], off offset:256
	s_wait_loadcnt 0x0
	;;#ASMSTART
	v_dot2_f32_f16 v83, v116, v108, v83
	;;#ASMEND
	;;#ASMSTART
	v_dot2_f32_f16 v83, v117, v109, v83
	;;#ASMEND
	;;#ASMSTART
	v_dot2_f32_f16 v83, v118, v110, v83
	;;#ASMEND
	;;#ASMSTART
	v_dot2_f32_f16 v83, v119, v111, v83
	;;#ASMEND
	global_load_b128 v[116:119], v[56:57], off offset:384
	s_wait_loadcnt 0x0
	;;#ASMSTART
	v_dot2_f32_f16 v83, v116, v112, v83
	;;#ASMEND
	;;#ASMSTART
	v_dot2_f32_f16 v83, v117, v113, v83
	;;#ASMEND
	;; [unrolled: 3-line block ×4, first 2 shown]
	ds_bpermute_b32 v82, v47, v83
	s_wait_dscnt 0x0
	v_add_f32_e32 v82, v83, v82
	ds_bpermute_b32 v83, v80, v82
	s_wait_dscnt 0x0
	v_add_f32_e32 v82, v82, v83
	;; [unrolled: 3-line block ×3, first 2 shown]
                                        ; implicit-def: $vgpr83
	s_delay_alu instid0(VALU_DEP_1) | instskip(SKIP_2) | instid1(SALU_CYCLE_1)
	v_cmp_ngt_f32_e64 s24, 0x3f200000, |v82|
	s_wait_xcnt 0x0
	s_and_saveexec_b32 s40, s24
	s_xor_b32 s24, exec_lo, s40
	s_cbranch_execz .LBB31_97
; %bb.96:                               ;   in Loop: Header=BB31_23 Depth=1
	v_add_f32_e64 v83, |v82|, |v82|
	s_delay_alu instid0(VALU_DEP_1) | instskip(SKIP_1) | instid1(VALU_DEP_2)
	v_mul_f32_e32 v116, 0x3fb8aa3b, v83
	v_cmp_ngt_f32_e32 vcc_lo, 0xc2ce8ed0, v83
	v_rndne_f32_e32 v117, v116
	v_fma_f32 v118, 0x3fb8aa3b, v83, -v116
	s_delay_alu instid0(VALU_DEP_2) | instskip(NEXT) | instid1(VALU_DEP_2)
	v_sub_f32_e32 v116, v116, v117
	v_fmac_f32_e32 v118, 0x32a5705f, v83
	v_cvt_i32_f32_e32 v117, v117
	s_delay_alu instid0(VALU_DEP_2) | instskip(NEXT) | instid1(VALU_DEP_1)
	v_add_f32_e32 v116, v116, v118
	v_exp_f32_e32 v116, v116
	v_nop
	s_delay_alu instid0(TRANS32_DEP_1) | instskip(NEXT) | instid1(VALU_DEP_1)
	v_ldexp_f32 v116, v116, v117
	v_cndmask_b32_e32 v116, 0, v116, vcc_lo
	v_cmp_nlt_f32_e32 vcc_lo, 0x42b17218, v83
	s_delay_alu instid0(VALU_DEP_2) | instskip(NEXT) | instid1(VALU_DEP_1)
	v_cndmask_b32_e32 v83, 0x7f800000, v116, vcc_lo
	v_add_f32_e32 v83, 1.0, v83
	s_delay_alu instid0(VALU_DEP_1) | instskip(SKIP_1) | instid1(TRANS32_DEP_1)
	v_rcp_f32_e32 v83, v83
	v_nop
	v_fma_f32 v83, v83, -2.0, 1.0
.LBB31_97:                              ;   in Loop: Header=BB31_23 Depth=1
	s_and_not1_saveexec_b32 s24, s24
	s_cbranch_execz .LBB31_99
; %bb.98:                               ;   in Loop: Header=BB31_23 Depth=1
	v_mul_f32_e32 v83, v82, v82
	s_delay_alu instid0(VALU_DEP_1) | instskip(NEXT) | instid1(VALU_DEP_1)
	v_fmaak_f32 v116, s37, v83, 0x3ca908c9
	v_fmaak_f32 v116, v83, v116, 0xbd5c1c4e
	s_delay_alu instid0(VALU_DEP_1) | instskip(NEXT) | instid1(VALU_DEP_1)
	v_fmaak_f32 v116, v83, v116, 0x3e088382
	v_fmaak_f32 v116, v83, v116, 0xbeaaaa99
	s_delay_alu instid0(VALU_DEP_1) | instskip(NEXT) | instid1(VALU_DEP_1)
	v_mul_f32_e64 v116, |v82|, v116
	v_fma_f32 v83, v83, v116, |v82|
.LBB31_99:                              ;   in Loop: Header=BB31_23 Depth=1
	s_or_b32 exec_lo, exec_lo, s24
	s_delay_alu instid0(VALU_DEP_1) | instskip(SKIP_1) | instid1(VALU_DEP_1)
	v_bfi_b32 v82, 0x7fffffff, v83, v82
	s_and_not1_b32 vcc_lo, exec_lo, s23
	v_mul_f32_e32 v82, s31, v82
	s_cbranch_vccnz .LBB31_101
; %bb.100:                              ;   in Loop: Header=BB31_23 Depth=1
	global_load_u16 v83, v8, s[20:21] offset:12 scale_offset
	s_wait_loadcnt 0x0
	v_fma_mix_f32 v82, v64, v83, v82 op_sel_hi:[0,1,0]
.LBB31_101:                             ;   in Loop: Header=BB31_23 Depth=1
	v_mov_b32_e32 v83, v17
	;;#ASMSTART
	v_dot2_f32_f16 v83, v0, v84, v83
	;;#ASMEND
	;;#ASMSTART
	v_dot2_f32_f16 v83, v1, v85, v83
	;;#ASMEND
	;;#ASMSTART
	v_dot2_f32_f16 v83, v2, v86, v83
	;;#ASMEND
	;;#ASMSTART
	v_dot2_f32_f16 v83, v3, v87, v83
	;;#ASMEND
	global_load_b128 v[0:3], v[56:57], off offset:128
	s_wait_loadcnt 0x0
	;;#ASMSTART
	v_dot2_f32_f16 v83, v0, v88, v83
	;;#ASMEND
	;;#ASMSTART
	v_dot2_f32_f16 v83, v1, v89, v83
	;;#ASMEND
	;;#ASMSTART
	v_dot2_f32_f16 v83, v2, v90, v83
	;;#ASMEND
	;;#ASMSTART
	v_dot2_f32_f16 v83, v3, v91, v83
	;;#ASMEND
	global_load_b128 v[0:3], v[56:57], off offset:256
	s_wait_loadcnt 0x0
	;; [unrolled: 14-line block ×3, first 2 shown]
	;;#ASMSTART
	v_dot2_f32_f16 v83, v0, v96, v83
	;;#ASMEND
	;;#ASMSTART
	v_dot2_f32_f16 v83, v1, v97, v83
	;;#ASMEND
	;; [unrolled: 3-line block ×4, first 2 shown]
	ds_bpermute_b32 v0, v47, v83
	s_wait_dscnt 0x0
	v_add_f32_e32 v0, v83, v0
	ds_bpermute_b32 v1, v80, v0
	s_wait_dscnt 0x0
	v_add_f32_e32 v0, v0, v1
	;; [unrolled: 3-line block ×3, first 2 shown]
                                        ; implicit-def: $vgpr1
	s_delay_alu instid0(VALU_DEP_1) | instskip(SKIP_2) | instid1(SALU_CYCLE_1)
	v_cmp_ngt_f32_e64 s24, 0x3f200000, |v0|
	s_wait_xcnt 0x0
	s_and_saveexec_b32 s40, s24
	s_xor_b32 s24, exec_lo, s40
	s_cbranch_execz .LBB31_103
; %bb.102:                              ;   in Loop: Header=BB31_23 Depth=1
	v_add_f32_e64 v1, |v0|, |v0|
	s_delay_alu instid0(VALU_DEP_1) | instskip(SKIP_1) | instid1(VALU_DEP_2)
	v_mul_f32_e32 v2, 0x3fb8aa3b, v1
	v_cmp_ngt_f32_e32 vcc_lo, 0xc2ce8ed0, v1
	v_rndne_f32_e32 v3, v2
	v_fma_f32 v56, 0x3fb8aa3b, v1, -v2
	s_delay_alu instid0(VALU_DEP_2) | instskip(NEXT) | instid1(VALU_DEP_2)
	v_sub_f32_e32 v2, v2, v3
	v_fmac_f32_e32 v56, 0x32a5705f, v1
	v_cvt_i32_f32_e32 v3, v3
	s_delay_alu instid0(VALU_DEP_2) | instskip(NEXT) | instid1(VALU_DEP_1)
	v_add_f32_e32 v2, v2, v56
	v_exp_f32_e32 v2, v2
	v_nop
	s_delay_alu instid0(TRANS32_DEP_1) | instskip(NEXT) | instid1(VALU_DEP_1)
	v_ldexp_f32 v2, v2, v3
	v_cndmask_b32_e32 v2, 0, v2, vcc_lo
	v_cmp_nlt_f32_e32 vcc_lo, 0x42b17218, v1
	s_delay_alu instid0(VALU_DEP_2) | instskip(NEXT) | instid1(VALU_DEP_1)
	v_cndmask_b32_e32 v1, 0x7f800000, v2, vcc_lo
	v_add_f32_e32 v1, 1.0, v1
	s_delay_alu instid0(VALU_DEP_1) | instskip(SKIP_1) | instid1(TRANS32_DEP_1)
	v_rcp_f32_e32 v1, v1
	v_nop
	v_fma_f32 v1, v1, -2.0, 1.0
.LBB31_103:                             ;   in Loop: Header=BB31_23 Depth=1
	s_and_not1_saveexec_b32 s24, s24
	s_cbranch_execz .LBB31_105
; %bb.104:                              ;   in Loop: Header=BB31_23 Depth=1
	v_mul_f32_e32 v1, v0, v0
	s_delay_alu instid0(VALU_DEP_1) | instskip(NEXT) | instid1(VALU_DEP_1)
	v_fmaak_f32 v2, s37, v1, 0x3ca908c9
	v_fmaak_f32 v2, v1, v2, 0xbd5c1c4e
	s_delay_alu instid0(VALU_DEP_1) | instskip(NEXT) | instid1(VALU_DEP_1)
	v_fmaak_f32 v2, v1, v2, 0x3e088382
	v_fmaak_f32 v2, v1, v2, 0xbeaaaa99
	s_delay_alu instid0(VALU_DEP_1) | instskip(NEXT) | instid1(VALU_DEP_1)
	v_mul_f32_e64 v2, |v0|, v2
	v_fma_f32 v1, v1, v2, |v0|
.LBB31_105:                             ;   in Loop: Header=BB31_23 Depth=1
	s_or_b32 exec_lo, exec_lo, s24
	s_delay_alu instid0(VALU_DEP_1) | instskip(SKIP_1) | instid1(VALU_DEP_1)
	v_bfi_b32 v0, 0x7fffffff, v1, v0
	s_and_not1_b32 vcc_lo, exec_lo, s27
	v_mul_f32_e32 v56, s31, v0
	s_cbranch_vccnz .LBB31_107
; %bb.106:                              ;   in Loop: Header=BB31_23 Depth=1
	global_load_u16 v0, v[54:55], off offset:12
	s_wait_loadcnt 0x0
	v_fma_mix_f32 v56, v64, v0, v56 op_sel_hi:[0,1,0]
.LBB31_107:                             ;   in Loop: Header=BB31_23 Depth=1
	v_add_nc_u64_e32 v[52:53], v[52:53], v[28:29]
	v_mov_b32_e32 v83, v17
	global_load_b128 v[0:3], v[52:53], off
	s_wait_loadcnt 0x0
	;;#ASMSTART
	v_dot2_f32_f16 v83, v0, v100, v83
	;;#ASMEND
	;;#ASMSTART
	v_dot2_f32_f16 v83, v1, v101, v83
	;;#ASMEND
	;;#ASMSTART
	v_dot2_f32_f16 v83, v2, v102, v83
	;;#ASMEND
	;;#ASMSTART
	v_dot2_f32_f16 v83, v3, v103, v83
	;;#ASMEND
	global_load_b128 v[116:119], v[52:53], off offset:128
	s_wait_loadcnt 0x0
	;;#ASMSTART
	v_dot2_f32_f16 v83, v116, v104, v83
	;;#ASMEND
	;;#ASMSTART
	v_dot2_f32_f16 v83, v117, v105, v83
	;;#ASMEND
	;;#ASMSTART
	v_dot2_f32_f16 v83, v118, v106, v83
	;;#ASMEND
	;;#ASMSTART
	v_dot2_f32_f16 v83, v119, v107, v83
	;;#ASMEND
	global_load_b128 v[116:119], v[52:53], off offset:256
	;; [unrolled: 14-line block ×3, first 2 shown]
	s_wait_loadcnt 0x0
	;;#ASMSTART
	v_dot2_f32_f16 v83, v116, v112, v83
	;;#ASMEND
	;;#ASMSTART
	v_dot2_f32_f16 v83, v117, v113, v83
	;;#ASMEND
	;; [unrolled: 3-line block ×4, first 2 shown]
	ds_bpermute_b32 v57, v47, v83
	s_wait_dscnt 0x0
	v_add_f32_e32 v57, v83, v57
	ds_bpermute_b32 v83, v80, v57
	s_wait_dscnt 0x0
	v_add_f32_e32 v57, v57, v83
	;; [unrolled: 3-line block ×3, first 2 shown]
                                        ; implicit-def: $vgpr83
	s_delay_alu instid0(VALU_DEP_1) | instskip(SKIP_2) | instid1(SALU_CYCLE_1)
	v_cmp_ngt_f32_e64 s24, 0x3f200000, |v57|
	s_wait_xcnt 0x0
	s_and_saveexec_b32 s40, s24
	s_xor_b32 s24, exec_lo, s40
	s_cbranch_execz .LBB31_109
; %bb.108:                              ;   in Loop: Header=BB31_23 Depth=1
	v_add_f32_e64 v83, |v57|, |v57|
	s_delay_alu instid0(VALU_DEP_1) | instskip(SKIP_1) | instid1(VALU_DEP_2)
	v_mul_f32_e32 v116, 0x3fb8aa3b, v83
	v_cmp_ngt_f32_e32 vcc_lo, 0xc2ce8ed0, v83
	v_rndne_f32_e32 v117, v116
	v_fma_f32 v118, 0x3fb8aa3b, v83, -v116
	s_delay_alu instid0(VALU_DEP_2) | instskip(NEXT) | instid1(VALU_DEP_2)
	v_sub_f32_e32 v116, v116, v117
	v_fmac_f32_e32 v118, 0x32a5705f, v83
	v_cvt_i32_f32_e32 v117, v117
	s_delay_alu instid0(VALU_DEP_2) | instskip(NEXT) | instid1(VALU_DEP_1)
	v_add_f32_e32 v116, v116, v118
	v_exp_f32_e32 v116, v116
	v_nop
	s_delay_alu instid0(TRANS32_DEP_1) | instskip(NEXT) | instid1(VALU_DEP_1)
	v_ldexp_f32 v116, v116, v117
	v_cndmask_b32_e32 v116, 0, v116, vcc_lo
	v_cmp_nlt_f32_e32 vcc_lo, 0x42b17218, v83
	s_delay_alu instid0(VALU_DEP_2) | instskip(NEXT) | instid1(VALU_DEP_1)
	v_cndmask_b32_e32 v83, 0x7f800000, v116, vcc_lo
	v_add_f32_e32 v83, 1.0, v83
	s_delay_alu instid0(VALU_DEP_1) | instskip(SKIP_1) | instid1(TRANS32_DEP_1)
	v_rcp_f32_e32 v83, v83
	v_nop
	v_fma_f32 v83, v83, -2.0, 1.0
.LBB31_109:                             ;   in Loop: Header=BB31_23 Depth=1
	s_and_not1_saveexec_b32 s24, s24
	s_cbranch_execz .LBB31_111
; %bb.110:                              ;   in Loop: Header=BB31_23 Depth=1
	v_mul_f32_e32 v83, v57, v57
	s_delay_alu instid0(VALU_DEP_1) | instskip(NEXT) | instid1(VALU_DEP_1)
	v_fmaak_f32 v116, s37, v83, 0x3ca908c9
	v_fmaak_f32 v116, v83, v116, 0xbd5c1c4e
	s_delay_alu instid0(VALU_DEP_1) | instskip(NEXT) | instid1(VALU_DEP_1)
	v_fmaak_f32 v116, v83, v116, 0x3e088382
	v_fmaak_f32 v116, v83, v116, 0xbeaaaa99
	s_delay_alu instid0(VALU_DEP_1) | instskip(NEXT) | instid1(VALU_DEP_1)
	v_mul_f32_e64 v116, |v57|, v116
	v_fma_f32 v83, v83, v116, |v57|
.LBB31_111:                             ;   in Loop: Header=BB31_23 Depth=1
	s_or_b32 exec_lo, exec_lo, s24
	s_delay_alu instid0(VALU_DEP_1) | instskip(SKIP_1) | instid1(VALU_DEP_1)
	v_bfi_b32 v57, 0x7fffffff, v83, v57
	s_and_not1_b32 vcc_lo, exec_lo, s23
	v_mul_f32_e32 v57, s31, v57
	s_cbranch_vccnz .LBB31_113
; %bb.112:                              ;   in Loop: Header=BB31_23 Depth=1
	global_load_u16 v83, v8, s[20:21] offset:14 scale_offset
	s_wait_loadcnt 0x0
	v_fma_mix_f32 v57, v64, v83, v57 op_sel_hi:[0,1,0]
.LBB31_113:                             ;   in Loop: Header=BB31_23 Depth=1
	v_mov_b32_e32 v83, v17
	;;#ASMSTART
	v_dot2_f32_f16 v83, v0, v84, v83
	;;#ASMEND
	;;#ASMSTART
	v_dot2_f32_f16 v83, v1, v85, v83
	;;#ASMEND
	;;#ASMSTART
	v_dot2_f32_f16 v83, v2, v86, v83
	;;#ASMEND
	;;#ASMSTART
	v_dot2_f32_f16 v83, v3, v87, v83
	;;#ASMEND
	global_load_b128 v[0:3], v[52:53], off offset:128
	s_wait_loadcnt 0x0
	;;#ASMSTART
	v_dot2_f32_f16 v83, v0, v88, v83
	;;#ASMEND
	;;#ASMSTART
	v_dot2_f32_f16 v83, v1, v89, v83
	;;#ASMEND
	;;#ASMSTART
	v_dot2_f32_f16 v83, v2, v90, v83
	;;#ASMEND
	;;#ASMSTART
	v_dot2_f32_f16 v83, v3, v91, v83
	;;#ASMEND
	global_load_b128 v[0:3], v[52:53], off offset:256
	s_wait_loadcnt 0x0
	;; [unrolled: 14-line block ×3, first 2 shown]
	;;#ASMSTART
	v_dot2_f32_f16 v83, v0, v96, v83
	;;#ASMEND
	;;#ASMSTART
	v_dot2_f32_f16 v83, v1, v97, v83
	;;#ASMEND
	;;#ASMSTART
	v_dot2_f32_f16 v83, v2, v98, v83
	;;#ASMEND
	;;#ASMSTART
	v_dot2_f32_f16 v83, v3, v99, v83
	;;#ASMEND
	ds_bpermute_b32 v0, v47, v83
	s_wait_dscnt 0x0
	v_add_f32_e32 v0, v83, v0
	ds_bpermute_b32 v1, v80, v0
	s_wait_dscnt 0x0
	v_add_f32_e32 v0, v0, v1
	ds_bpermute_b32 v1, v81, v0
	s_wait_dscnt 0x0
	v_add_f32_e32 v0, v0, v1
                                        ; implicit-def: $vgpr1
	s_delay_alu instid0(VALU_DEP_1) | instskip(SKIP_2) | instid1(SALU_CYCLE_1)
	v_cmp_ngt_f32_e64 s24, 0x3f200000, |v0|
	s_wait_xcnt 0x0
	s_and_saveexec_b32 s40, s24
	s_xor_b32 s24, exec_lo, s40
	s_cbranch_execz .LBB31_115
; %bb.114:                              ;   in Loop: Header=BB31_23 Depth=1
	v_add_f32_e64 v1, |v0|, |v0|
	s_delay_alu instid0(VALU_DEP_1) | instskip(SKIP_1) | instid1(VALU_DEP_2)
	v_mul_f32_e32 v2, 0x3fb8aa3b, v1
	v_cmp_ngt_f32_e32 vcc_lo, 0xc2ce8ed0, v1
	v_rndne_f32_e32 v3, v2
	v_fma_f32 v47, 0x3fb8aa3b, v1, -v2
	s_delay_alu instid0(VALU_DEP_1) | instskip(SKIP_1) | instid1(VALU_DEP_2)
	v_dual_sub_f32 v2, v2, v3 :: v_dual_fmac_f32 v47, 0x32a5705f, v1
	v_cvt_i32_f32_e32 v3, v3
	v_add_f32_e32 v2, v2, v47
	s_delay_alu instid0(VALU_DEP_1) | instskip(SKIP_1) | instid1(TRANS32_DEP_1)
	v_exp_f32_e32 v2, v2
	v_nop
	v_ldexp_f32 v2, v2, v3
	s_delay_alu instid0(VALU_DEP_1) | instskip(SKIP_1) | instid1(VALU_DEP_2)
	v_cndmask_b32_e32 v2, 0, v2, vcc_lo
	v_cmp_nlt_f32_e32 vcc_lo, 0x42b17218, v1
	v_cndmask_b32_e32 v1, 0x7f800000, v2, vcc_lo
	s_delay_alu instid0(VALU_DEP_1) | instskip(NEXT) | instid1(VALU_DEP_1)
	v_add_f32_e32 v1, 1.0, v1
	v_rcp_f32_e32 v1, v1
	v_nop
	s_delay_alu instid0(TRANS32_DEP_1)
	v_fma_f32 v1, v1, -2.0, 1.0
.LBB31_115:                             ;   in Loop: Header=BB31_23 Depth=1
	s_and_not1_saveexec_b32 s24, s24
	s_cbranch_execz .LBB31_117
; %bb.116:                              ;   in Loop: Header=BB31_23 Depth=1
	v_mul_f32_e32 v1, v0, v0
	s_delay_alu instid0(VALU_DEP_1) | instskip(NEXT) | instid1(VALU_DEP_1)
	v_fmaak_f32 v2, s37, v1, 0x3ca908c9
	v_fmaak_f32 v2, v1, v2, 0xbd5c1c4e
	s_delay_alu instid0(VALU_DEP_1) | instskip(NEXT) | instid1(VALU_DEP_1)
	v_fmaak_f32 v2, v1, v2, 0x3e088382
	v_fmaak_f32 v2, v1, v2, 0xbeaaaa99
	s_delay_alu instid0(VALU_DEP_1) | instskip(NEXT) | instid1(VALU_DEP_1)
	v_mul_f32_e64 v2, |v0|, v2
	v_fma_f32 v1, v1, v2, |v0|
.LBB31_117:                             ;   in Loop: Header=BB31_23 Depth=1
	s_or_b32 exec_lo, exec_lo, s24
	s_delay_alu instid0(VALU_DEP_1) | instskip(SKIP_1) | instid1(VALU_DEP_1)
	v_bfi_b32 v0, 0x7fffffff, v1, v0
	s_and_not1_b32 vcc_lo, exec_lo, s27
	v_mul_f32_e32 v53, s31, v0
	s_cbranch_vccnz .LBB31_119
; %bb.118:                              ;   in Loop: Header=BB31_23 Depth=1
	global_load_u16 v0, v[54:55], off offset:14
	s_wait_loadcnt 0x0
	v_fma_mix_f32 v53, v64, v0, v53 op_sel_hi:[0,1,0]
.LBB31_119:                             ;   in Loop: Header=BB31_23 Depth=1
	scratch_load_b128 v[116:119], off, off offset:16
	v_dual_mov_b32 v47, v17 :: v_dual_add_f32 v52, 0x40051340, v68
	s_wait_xcnt 0x1
	v_dual_add_f32 v54, 0x40051340, v70 :: v_dual_add_f32 v55, 0x40051340, v72
	v_xor_b32_e32 v128, 8, v63
	v_dual_add_f32 v80, 0x40051340, v74 :: v_dual_add_f32 v81, 0x40051340, v76
	v_dual_add_f32 v83, 0x40051340, v78 :: v_dual_add_f32 v126, 0x40051340, v69
	s_delay_alu instid0(VALU_DEP_4) | instskip(NEXT) | instid1(VALU_DEP_4)
	v_max3_num_f32 v52, v67, v52, v54
	v_cmp_gt_i32_e32 vcc_lo, 32, v128
	v_add_f32_e32 v127, 0x40051340, v71
	v_dual_add_f32 v129, 0x40051340, v73 :: v_dual_add_f32 v54, 0x40051340, v75
	s_delay_alu instid0(VALU_DEP_4) | instskip(SKIP_1) | instid1(VALU_DEP_4)
	v_max3_num_f32 v52, v52, v55, v80
	v_cndmask_b32_e32 v80, v63, v128, vcc_lo
	v_max3_num_f32 v126, v9, v126, v127
	v_dual_add_f32 v127, 0x40051340, v77 :: v_dual_add_f32 v130, 0x40051340, v79
	v_dual_add_f32 v124, 0x40051340, v82 :: v_dual_add_f32 v125, 0x40051340, v57
	s_delay_alu instid0(VALU_DEP_3) | instskip(SKIP_3) | instid1(VALU_DEP_4)
	v_max3_num_f32 v54, v126, v129, v54
	v_add_f32_e32 v55, 0x40051340, v56
	v_max3_num_f32 v52, v52, v81, v83
	v_dual_add_f32 v81, 0x40051340, v53 :: v_dual_lshlrev_b32 v80, 2, v80
	v_max3_num_f32 v54, v54, v127, v130
	v_cndmask_b32_e64 v50, v50, v68, s2
	s_delay_alu instid0(VALU_DEP_4)
	v_max3_num_f32 v52, v52, v124, v125
	v_cndmask_b32_e64 v51, v51, v69, s2
	v_add_nc_u64_e32 v[0:1], s[28:29], v[30:31]
	v_max3_num_f32 v54, v54, v55, v81
	v_xor_b32_e32 v81, 16, v63
	ds_bpermute_b32 v55, v80, v52
	v_dual_cndmask_b32 v50, v50, v70, s3 :: v_dual_cndmask_b32 v51, v51, v71, s3
	ds_bpermute_b32 v80, v80, v54
	v_cmp_gt_i32_e32 vcc_lo, 32, v81
	v_add_nc_u64_e32 v[180:181], v[0:1], v[46:47]
	v_dual_cndmask_b32 v50, v50, v72, s4 :: v_dual_cndmask_b32 v51, v51, v73, s4
	scratch_load_b128 v[120:123], off, off
	global_load_b128 v[0:3], v[180:181], off
	v_dual_cndmask_b32 v68, v63, v81, vcc_lo :: v_dual_cndmask_b32 v50, v50, v74, s5
	v_cndmask_b32_e64 v51, v51, v75, s5
	v_add_nc_u64_e32 v[128:129], s[28:29], v[38:39]
	v_add_nc_u64_e32 v[136:137], s[28:29], v[40:41]
	s_delay_alu instid0(VALU_DEP_4) | instskip(NEXT) | instid1(VALU_DEP_4)
	v_lshlrev_b32_e32 v68, 2, v68
	v_dual_cndmask_b32 v50, v50, v76, s6 :: v_dual_cndmask_b32 v51, v51, v77, s6
	s_wait_dscnt 0x1
	v_max_num_f32_e32 v55, v55, v55
	v_add_nc_u64_e32 v[144:145], s[28:29], v[42:43]
	v_add_nc_u64_e32 v[212:213], v[128:129], v[46:47]
	s_wait_dscnt 0x0
	v_dual_max_num_f32 v69, v80, v80 :: v_dual_cndmask_b32 v50, v50, v78, s7
	v_max_num_f32_e32 v52, v52, v55
	v_cndmask_b32_e64 v51, v51, v79, s7
	v_add_nc_u64_e32 v[220:221], v[136:137], v[46:47]
	s_delay_alu instid0(VALU_DEP_4)
	v_max_num_f32_e32 v54, v54, v69
	v_cndmask_b32_e64 v50, v50, v82, s8
	ds_bpermute_b32 v55, v68, v52
	v_cndmask_b32_e64 v51, v51, v56, s8
	v_add_nc_u64_e32 v[228:229], v[144:145], v[46:47]
	ds_bpermute_b32 v68, v68, v54
	v_cndmask_b32_e64 v50, v50, v57, s9
	v_add_nc_u64_e32 v[152:153], s[28:29], v[44:45]
	s_mov_b32 s41, s25
	v_cndmask_b32_e64 v51, v51, v53, s9
	s_delay_alu instid0(VALU_DEP_2) | instskip(SKIP_2) | instid1(VALU_DEP_1)
	v_add_nc_u64_e32 v[232:233], v[152:153], v[46:47]
	s_wait_dscnt 0x0
	v_dual_max_num_f32 v55, v55, v55 :: v_dual_max_num_f32 v56, v68, v68
	v_dual_max_num_f32 v52, v52, v55 :: v_dual_max_num_f32 v53, v54, v56
	s_delay_alu instid0(VALU_DEP_1) | instskip(NEXT) | instid1(VALU_DEP_1)
	v_dual_sub_f32 v50, v50, v52 :: v_dual_sub_f32 v51, v51, v53
	v_dual_sub_f32 v54, v67, v52 :: v_dual_mul_f32 v55, 0x3fb8aa3b, v50
	v_cmp_ngt_f32_e32 vcc_lo, 0xc2ce8ed0, v50
	s_delay_alu instid0(VALU_DEP_3) | instskip(NEXT) | instid1(VALU_DEP_3)
	v_dual_mul_f32 v56, 0x3fb8aa3b, v51 :: v_dual_sub_f32 v9, v9, v53
	v_fma_f32 v67, 0x3fb8aa3b, v50, -v55
	v_rndne_f32_e32 v68, v55
	s_delay_alu instid0(VALU_DEP_3) | instskip(SKIP_1) | instid1(VALU_DEP_4)
	v_fma_f32 v69, 0x3fb8aa3b, v51, -v56
	v_rndne_f32_e32 v70, v56
	v_fmac_f32_e32 v67, 0x32a5705f, v50
	s_delay_alu instid0(VALU_DEP_4) | instskip(NEXT) | instid1(VALU_DEP_3)
	v_sub_f32_e32 v55, v55, v68
	v_dual_fmac_f32 v69, 0x32a5705f, v51 :: v_dual_sub_f32 v56, v56, v70
	s_delay_alu instid0(VALU_DEP_1) | instskip(NEXT) | instid1(VALU_DEP_1)
	v_dual_mul_f32 v57, 0x3fb8aa3b, v54 :: v_dual_add_f32 v56, v56, v69
	v_rndne_f32_e32 v72, v57
	s_delay_alu instid0(VALU_DEP_4)
	v_add_f32_e32 v55, v55, v67
	v_fma_f32 v71, 0x3fb8aa3b, v54, -v57
	v_cvt_i32_f32_e32 v67, v68
	v_exp_f32_e32 v56, v56
	v_sub_f32_e32 v57, v57, v72
	v_exp_f32_e32 v55, v55
	v_cvt_i32_f32_e32 v68, v70
	v_fmac_f32_e32 v71, 0x32a5705f, v54
	s_delay_alu instid0(TRANS32_DEP_2) | instid1(VALU_DEP_2)
	v_ldexp_f32 v56, v56, v68
	s_delay_alu instid0(TRANS32_DEP_1) | instskip(NEXT) | instid1(VALU_DEP_3)
	v_ldexp_f32 v55, v55, v67
	v_add_f32_e32 v57, v57, v71
	v_cvt_i32_f32_e32 v67, v72
	s_delay_alu instid0(VALU_DEP_3) | instskip(SKIP_1) | instid1(VALU_DEP_4)
	v_cndmask_b32_e32 v55, 0, v55, vcc_lo
	v_cmp_ngt_f32_e32 vcc_lo, 0xc2ce8ed0, v51
	v_exp_f32_e32 v57, v57
	v_cndmask_b32_e32 v56, 0, v56, vcc_lo
	v_cmp_nlt_f32_e32 vcc_lo, 0x42b17218, v50
	s_delay_alu instid0(TRANS32_DEP_1) | instskip(SKIP_4) | instid1(VALU_DEP_4)
	v_ldexp_f32 v57, v57, v67
	v_cndmask_b32_e32 v50, 0x7f800000, v55, vcc_lo
	v_cmp_nlt_f32_e32 vcc_lo, 0x42b17218, v51
	v_cndmask_b32_e32 v51, 0x7f800000, v56, vcc_lo
	v_cmp_ngt_f32_e32 vcc_lo, 0xc2ce8ed0, v54
	v_cvt_f16_f32_e32 v56, v50
	v_cndmask_b32_e32 v55, 0, v57, vcc_lo
	v_cmp_nlt_f32_e32 vcc_lo, 0x42b17218, v54
	v_cvt_f16_f32_e32 v57, v51
	ds_store_b16 v59, v56
	ds_store_b16 v59, v57 offset:256
	v_cndmask_b32_e32 v244, 0x7f800000, v55, vcc_lo
	v_add_nc_u64_e32 v[54:55], s[28:29], v[32:33]
	ds_load_u16 v67, v65
	v_cmp_ngt_f32_e32 vcc_lo, 0xc2ce8ed0, v9
	v_cvt_f16_f32_e64 v56, v244
	v_add_nc_u64_e32 v[188:189], v[54:55], v[46:47]
	s_delay_alu instid0(VALU_DEP_2)
	v_and_b32_e32 v68, 0xffff, v56
	global_load_b128 v[54:57], v[180:181], off offset:128
	ds_load_u16 v124, v66 offset:16
	ds_load_u16 v132, v66 offset:24
	;; [unrolled: 1-line block ×5, first 2 shown]
	v_mul_u32_u24_e32 v182, 0x10001, v68
	s_wait_dscnt 0x5
	v_mul_u32_u24_e32 v67, 0x10001, v67
	s_wait_dscnt 0x4
	;; [unrolled: 2-line block ×5, first 2 shown]
	v_mul_u32_u24_e32 v222, 0x10001, v140
	s_wait_loadcnt 0x3
	v_pk_mul_f16 v68, v116, v182
	v_pk_mul_f16 v69, v117, v182
	;; [unrolled: 1-line block ×4, first 2 shown]
	s_clause 0x1
	scratch_store_b128 off, v[68:71], off offset:16
	scratch_load_b128 v[68:71], off, off offset:16
	global_load_b128 v[80:83], v[188:189], off
	s_wait_loadcnt 0x4
	v_pk_mul_f16 v72, v120, v182
	v_pk_mul_f16 v73, v121, v182
	;; [unrolled: 1-line block ×4, first 2 shown]
	v_add_nc_u64_e32 v[120:121], s[28:29], v[36:37]
	s_wait_loadcnt 0x3
	v_pk_fma_f16 v76, v0, v67, v72
	v_pk_fma_f16 v77, v1, v67, v73
	;; [unrolled: 1-line block ×4, first 2 shown]
	s_clause 0x1
	scratch_store_b128 off, v[72:75], off
	scratch_store_b128 off, v[76:79], off
	ds_load_u16 v116, v66 offset:8
	s_wait_xcnt 0x0
	v_add_nc_u64_e32 v[76:77], s[28:29], v[34:35]
	scratch_load_b128 v[72:75], off, off
	v_add_nc_u64_e32 v[204:205], v[120:121], v[46:47]
	v_add_nc_u64_e32 v[196:197], v[76:77], v[46:47]
	global_load_b128 v[76:79], v[188:189], off offset:128
	s_wait_dscnt 0x0
	v_mul_u32_u24_e32 v198, 0x10001, v116
	s_wait_loadcnt 0x3
	v_pk_fma_f16 v68, v54, v67, v68
	v_pk_fma_f16 v69, v55, v67, v69
	;; [unrolled: 1-line block ×4, first 2 shown]
	s_clause 0x1
	scratch_store_b128 off, v[68:71], off offset:16
	scratch_load_b128 v[68:71], off, off offset:16
	s_clause 0x1
	global_load_b128 v[116:119], v[196:197], off
	global_load_b128 v[120:123], v[196:197], off offset:128
	s_wait_loadcnt 0x4
	v_pk_fma_f16 v72, v80, v198, v72
	v_pk_fma_f16 v73, v81, v198, v73
	v_pk_fma_f16 v74, v82, v198, v74
	v_pk_fma_f16 v75, v83, v198, v75
	s_wait_loadcnt 0x2
	v_pk_fma_f16 v68, v76, v198, v68
	v_pk_fma_f16 v69, v77, v198, v69
	v_pk_fma_f16 v70, v78, v198, v70
	v_pk_fma_f16 v71, v79, v198, v71
	s_clause 0x3
	scratch_store_b128 off, v[72:75], off
	scratch_load_b128 v[72:75], off, off
	scratch_store_b128 off, v[68:71], off offset:16
	scratch_load_b128 v[68:71], off, off offset:16
	s_clause 0x1
	global_load_b128 v[124:127], v[204:205], off
	global_load_b128 v[128:131], v[204:205], off offset:128
	s_wait_loadcnt 0x3
	v_pk_fma_f16 v72, v116, v206, v72
	v_pk_fma_f16 v73, v117, v206, v73
	v_pk_fma_f16 v74, v118, v206, v74
	v_pk_fma_f16 v75, v119, v206, v75
	s_wait_loadcnt 0x2
	v_pk_fma_f16 v68, v120, v206, v68
	v_pk_fma_f16 v69, v121, v206, v69
	v_pk_fma_f16 v70, v122, v206, v70
	v_pk_fma_f16 v71, v123, v206, v71
	s_clause 0x3
	scratch_store_b128 off, v[72:75], off
	scratch_load_b128 v[72:75], off, off
	;; [unrolled: 18-line block ×4, first 2 shown]
	scratch_store_b128 off, v[68:71], off offset:16
	scratch_load_b128 v[68:71], off, off offset:16
	global_load_b128 v[148:151], v[228:229], off
	ds_load_u16 v156, v66 offset:48
	global_load_b128 v[152:155], v[228:229], off offset:128
	s_wait_dscnt 0x0
	v_mul_u32_u24_e32 v234, 0x10001, v156
	s_wait_loadcnt 0x3
	v_pk_fma_f16 v72, v140, v230, v72
	v_pk_fma_f16 v73, v141, v230, v73
	;; [unrolled: 1-line block ×4, first 2 shown]
	s_wait_loadcnt 0x2
	v_pk_fma_f16 v68, v144, v230, v68
	v_pk_fma_f16 v69, v145, v230, v69
	;; [unrolled: 1-line block ×4, first 2 shown]
	s_clause 0x1
	scratch_store_b128 off, v[72:75], off
	scratch_load_b128 v[72:75], off, off
	ds_load_u16 v47, v66 offset:272
	ds_load_u16 v247, v66 offset:280
	;; [unrolled: 1-line block ×6, first 2 shown]
	s_clause 0x1
	scratch_store_b128 off, v[68:71], off offset:16
	scratch_load_b128 v[68:71], off, off offset:16
	global_load_b128 v[156:159], v[232:233], off
	s_wait_dscnt 0x0
	v_mul_u32_u24_e32 v240, 0x10001, v168
	s_wait_loadcnt 0x2
	v_pk_fma_f16 v72, v148, v234, v72
	v_pk_fma_f16 v73, v149, v234, v73
	;; [unrolled: 1-line block ×4, first 2 shown]
	s_wait_loadcnt 0x1
	v_pk_fma_f16 v68, v152, v234, v68
	v_pk_fma_f16 v69, v153, v234, v69
	;; [unrolled: 1-line block ×4, first 2 shown]
	s_clause 0x2
	scratch_store_b128 off, v[72:75], off
	scratch_load_b128 v[72:75], off, off
	scratch_load_b128 v[160:163], off, off offset:32
	global_load_b128 v[164:167], v[232:233], off offset:128
	s_clause 0x2
	scratch_store_b128 off, v[68:71], off offset:16
	scratch_load_b128 v[68:71], off, off offset:16
	scratch_load_b128 v[168:171], off, off offset:48
	s_wait_loadcnt 0x4
	v_pk_fma_f16 v72, v156, v240, v72
	s_wait_loadcnt 0x3
	v_pk_mul_f16 v160, v160, v182
	v_pk_mul_f16 v161, v161, v182
	;; [unrolled: 1-line block ×4, first 2 shown]
	v_pk_fma_f16 v73, v157, v240, v73
	s_wait_loadcnt 0x0
	v_pk_mul_f16 v168, v168, v182
	v_pk_mul_f16 v169, v169, v182
	v_pk_mul_f16 v170, v170, v182
	s_clause 0x1
	scratch_store_b128 off, v[160:163], off offset:32
	scratch_load_b128 v[160:163], off, off offset:32
	s_clause 0x1
	global_load_b128 v[172:175], v[180:181], off offset:256
	global_load_b128 v[176:179], v[180:181], off offset:384
	v_pk_mul_f16 v171, v171, v182
	v_pk_fma_f16 v74, v158, v240, v74
	v_pk_fma_f16 v75, v159, v240, v75
	;; [unrolled: 1-line block ×6, first 2 shown]
	s_wait_loadcnt 0x1
	v_pk_fma_f16 v160, v172, v67, v160
	v_pk_fma_f16 v161, v173, v67, v161
	;; [unrolled: 1-line block ×4, first 2 shown]
	s_clause 0x3
	scratch_store_b128 off, v[168:171], off offset:48
	scratch_load_b128 v[168:171], off, off offset:48
	scratch_store_b128 off, v[160:163], off offset:32
	scratch_load_b128 v[160:163], off, off offset:32
	s_clause 0x1
	global_load_b128 v[180:183], v[188:189], off offset:256
	global_load_b128 v[184:187], v[188:189], off offset:384
	s_wait_loadcnt 0x3
	v_pk_fma_f16 v168, v176, v67, v168
	v_pk_fma_f16 v169, v177, v67, v169
	;; [unrolled: 1-line block ×4, first 2 shown]
	s_wait_loadcnt 0x1
	v_pk_fma_f16 v160, v180, v198, v160
	v_pk_fma_f16 v161, v181, v198, v161
	v_pk_fma_f16 v162, v182, v198, v162
	v_pk_fma_f16 v163, v183, v198, v163
	s_clause 0x1
	scratch_store_b128 off, v[168:171], off offset:48
	scratch_load_b128 v[168:171], off, off offset:48
	v_mul_f32_e32 v67, 0x3fb8aa3b, v9
	s_clause 0x1
	scratch_store_b128 off, v[160:163], off offset:32
	scratch_load_b128 v[160:163], off, off offset:32
	s_clause 0x1
	global_load_b128 v[188:191], v[196:197], off offset:256
	global_load_b128 v[192:195], v[196:197], off offset:384
	v_fma_f32 v235, 0x3fb8aa3b, v9, -v67
	v_rndne_f32_e32 v236, v67
	s_delay_alu instid0(VALU_DEP_2) | instskip(NEXT) | instid1(VALU_DEP_2)
	v_fmac_f32_e32 v235, 0x32a5705f, v9
	v_sub_f32_e32 v67, v67, v236
	s_delay_alu instid0(VALU_DEP_1) | instskip(SKIP_1) | instid1(VALU_DEP_2)
	v_add_f32_e32 v67, v67, v235
	v_cvt_i32_f32_e32 v235, v236
	v_exp_f32_e32 v67, v67
	v_nop
	s_delay_alu instid0(TRANS32_DEP_1) | instskip(NEXT) | instid1(VALU_DEP_1)
	v_ldexp_f32 v67, v67, v235
	v_cndmask_b32_e32 v67, 0, v67, vcc_lo
	v_cmp_nlt_f32_e32 vcc_lo, 0x42b17218, v9
	s_delay_alu instid0(VALU_DEP_2) | instskip(NEXT) | instid1(VALU_DEP_1)
	v_cndmask_b32_e32 v245, 0x7f800000, v67, vcc_lo
	v_cvt_f16_f32_e64 v9, v245
	v_pk_fma_f32 v[4:5], v[4:5], v[244:245], v[50:51]
	s_delay_alu instid0(VALU_DEP_2) | instskip(NEXT) | instid1(VALU_DEP_1)
	v_and_b32_e32 v9, 0xffff, v9
	v_mul_u32_u24_e32 v9, 0x10001, v9
	s_wait_loadcnt 0x3
	v_pk_fma_f16 v168, v184, v198, v168
	v_pk_fma_f16 v169, v185, v198, v169
	v_pk_fma_f16 v170, v186, v198, v170
	v_pk_fma_f16 v171, v187, v198, v171
	s_wait_loadcnt 0x1
	v_pk_fma_f16 v160, v188, v206, v160
	v_pk_fma_f16 v161, v189, v206, v161
	v_pk_fma_f16 v162, v190, v206, v162
	v_pk_fma_f16 v163, v191, v206, v163
	s_clause 0x3
	scratch_store_b128 off, v[168:171], off offset:48
	scratch_load_b128 v[168:171], off, off offset:48
	scratch_store_b128 off, v[160:163], off offset:32
	scratch_load_b128 v[160:163], off, off offset:32
	s_clause 0x1
	global_load_b128 v[196:199], v[204:205], off offset:256
	global_load_b128 v[200:203], v[204:205], off offset:384
	s_wait_loadcnt 0x3
	v_pk_fma_f16 v168, v192, v206, v168
	v_pk_fma_f16 v169, v193, v206, v169
	v_pk_fma_f16 v170, v194, v206, v170
	v_pk_fma_f16 v171, v195, v206, v171
	s_wait_loadcnt 0x1
	v_pk_fma_f16 v160, v196, v214, v160
	v_pk_fma_f16 v161, v197, v214, v161
	v_pk_fma_f16 v162, v198, v214, v162
	v_pk_fma_f16 v163, v199, v214, v163
	s_clause 0x3
	scratch_store_b128 off, v[168:171], off offset:48
	scratch_load_b128 v[168:171], off, off offset:48
	scratch_store_b128 off, v[160:163], off offset:32
	scratch_load_b128 v[160:163], off, off offset:32
	s_clause 0x1
	global_load_b128 v[204:207], v[212:213], off offset:256
	global_load_b128 v[208:211], v[212:213], off offset:384
	;; [unrolled: 18-line block ×4, first 2 shown]
	s_wait_loadcnt 0x3
	v_pk_fma_f16 v168, v216, v230, v168
	v_pk_fma_f16 v169, v217, v230, v169
	;; [unrolled: 1-line block ×4, first 2 shown]
	s_wait_loadcnt 0x1
	v_pk_fma_f16 v160, v220, v234, v160
	v_pk_fma_f16 v161, v221, v234, v161
	;; [unrolled: 1-line block ×4, first 2 shown]
	s_clause 0x1
	scratch_store_b128 off, v[168:171], off offset:48
	scratch_load_b128 v[168:171], off, off offset:48
	global_load_b128 v[228:231], v[232:233], off offset:256
	scratch_load_b128 v[236:239], off, off offset:64
	s_wait_loadcnt 0x2
	v_pk_fma_f16 v168, v224, v234, v168
	v_pk_fma_f16 v169, v225, v234, v169
	s_wait_loadcnt 0x0
	v_pk_mul_f16 v67, v236, v9
	v_pk_mul_f16 v236, v237, v9
	;; [unrolled: 1-line block ×4, first 2 shown]
	ds_load_u16 v239, v65 offset:256
	v_pk_fma_f16 v170, v226, v234, v170
	v_pk_fma_f16 v171, v227, v234, v171
	s_clause 0x1
	scratch_store_b128 off, v[160:163], off offset:32
	scratch_load_b128 v[160:163], off, off offset:32
	global_load_b128 v[232:235], v[232:233], off offset:384
	s_clause 0x1
	scratch_store_b128 off, v[168:171], off offset:48
	scratch_load_b128 v[168:171], off, off offset:48
	s_wait_dscnt 0x0
	v_mul_u32_u24_e32 v251, 0x10001, v239
	s_delay_alu instid0(VALU_DEP_1)
	v_pk_fma_f16 v0, v0, v251, v67
	v_pk_fma_f16 v1, v1, v251, v236
	;; [unrolled: 1-line block ×4, first 2 shown]
	ds_load_u16 v67, v66 offset:264
	s_clause 0x1
	scratch_store_b128 off, v[0:3], off offset:64
	scratch_load_b128 v[0:3], off, off offset:64
	s_wait_dscnt 0x0
	v_mul_u32_u24_e32 v67, 0x10001, v67
	s_wait_loadcnt 0x3
	v_pk_fma_f16 v160, v228, v240, v160
	v_pk_fma_f16 v161, v229, v240, v161
	v_pk_fma_f16 v162, v230, v240, v162
	v_pk_fma_f16 v163, v231, v240, v163
	s_wait_loadcnt 0x1
	v_pk_fma_f16 v168, v232, v240, v168
	v_pk_fma_f16 v169, v233, v240, v169
	v_pk_fma_f16 v170, v234, v240, v170
	v_pk_fma_f16 v171, v235, v240, v171
	s_wait_loadcnt 0x0
	v_pk_fma_f16 v0, v80, v67, v0
	v_pk_fma_f16 v1, v81, v67, v1
	v_pk_fma_f16 v2, v82, v67, v2
	v_pk_fma_f16 v3, v83, v67, v3
	s_clause 0x2
	scratch_load_b128 v[80:83], off, off offset:96
	scratch_load_b128 v[236:239], off, off offset:112
	;; [unrolled: 1-line block ×3, first 2 shown]
	s_wait_loadcnt 0x2
	v_pk_mul_f16 v80, v80, v9
	v_pk_mul_f16 v81, v81, v9
	;; [unrolled: 1-line block ×4, first 2 shown]
	s_wait_loadcnt 0x0
	v_pk_mul_f16 v240, v240, v9
	v_pk_mul_f16 v241, v241, v9
	;; [unrolled: 1-line block ×8, first 2 shown]
	s_clause 0x4
	scratch_store_b128 off, v[80:83], off offset:96
	scratch_store_b128 off, v[236:239], off offset:112
	;; [unrolled: 1-line block ×3, first 2 shown]
	scratch_load_b128 v[80:83], off, off offset:88
	scratch_load_b128 v[236:239], off, off offset:104
	v_pk_fma_f16 v54, v54, v251, v240
	v_pk_fma_f16 v55, v55, v251, v241
	v_mul_u32_u24_e32 v9, 0x10001, v47
	v_mul_u32_u24_e32 v47, 0x10001, v247
	s_clause 0x1
	scratch_store_b128 off, v[0:3], off offset:64
	scratch_load_b128 v[0:3], off, off offset:64
	s_wait_loadcnt 0x2
	v_pk_fma_f16 v56, v56, v251, v80
	v_pk_fma_f16 v57, v57, v251, v81
	v_pk_fma_f16 v80, v172, v251, v82
	v_pk_fma_f16 v81, v173, v251, v83
	s_wait_loadcnt 0x1
	v_pk_fma_f16 v82, v174, v251, v236
	v_pk_fma_f16 v83, v175, v251, v237
	s_clause 0x1
	scratch_store_b128 off, v[54:57], off offset:80
	scratch_load_b128 v[54:57], off, off offset:80
	s_wait_loadcnt 0x1
	v_pk_fma_f16 v0, v116, v9, v0
	v_pk_fma_f16 v1, v117, v9, v1
	;; [unrolled: 1-line block ×4, first 2 shown]
	v_mul_u32_u24_e32 v118, 0x10001, v246
	v_mul_u32_u24_e32 v119, 0x10001, v248
	s_clause 0x1
	scratch_store_b128 off, v[0:3], off offset:64
	scratch_load_b128 v[0:3], off, off offset:64
	s_wait_loadcnt 0x1
	v_pk_fma_f16 v54, v76, v67, v54
	v_pk_fma_f16 v55, v77, v67, v55
	v_pk_fma_f16 v56, v78, v67, v56
	v_pk_fma_f16 v57, v79, v67, v57
	s_clause 0x1
	scratch_store_b128 off, v[54:57], off offset:80
	scratch_load_b128 v[54:57], off, off offset:80
	s_wait_loadcnt 0x1
	v_pk_fma_f16 v0, v124, v47, v0
	v_pk_fma_f16 v1, v125, v47, v1
	v_pk_fma_f16 v2, v126, v47, v2
	v_pk_fma_f16 v3, v127, v47, v3
	;; [unrolled: 8-line block ×3, first 2 shown]
	v_mul_u32_u24_e32 v120, 0x10001, v249
	v_mul_u32_u24_e32 v121, 0x10001, v250
	s_clause 0x1
	scratch_store_b128 off, v[54:57], off offset:80
	scratch_load_b128 v[54:57], off, off offset:80
	s_wait_loadcnt 0x1
	v_pk_fma_f16 v0, v132, v118, v0
	v_pk_fma_f16 v1, v133, v118, v1
	v_pk_fma_f16 v2, v134, v118, v2
	v_pk_fma_f16 v3, v135, v118, v3
	s_clause 0x1
	scratch_store_b128 off, v[0:3], off offset:64
	scratch_load_b128 v[0:3], off, off offset:64
	s_wait_loadcnt 0x1
	v_pk_fma_f16 v54, v128, v47, v54
	v_pk_fma_f16 v55, v129, v47, v55
	v_pk_fma_f16 v56, v130, v47, v56
	v_pk_fma_f16 v57, v131, v47, v57
	;; [unrolled: 8-line block ×5, first 2 shown]
	scratch_store_b128 off, v[0:3], off offset:64
	s_wait_loadcnt 0x0
	v_pk_fma_f16 v54, v144, v119, v54
	v_pk_fma_f16 v55, v145, v119, v55
	;; [unrolled: 1-line block ×4, first 2 shown]
	s_clause 0x3
	scratch_store_b128 off, v[54:57], off offset:80
	scratch_load_b128 v[54:57], off, off offset:80
	scratch_load_b128 v[0:3], off, off offset:64
	scratch_load_b64 v[116:117], off, off offset:120
	s_load_b32 s24, s[10:11], 0x4
	s_wait_kmcnt 0x0
	s_lshl_b32 s40, s24, 7
	s_delay_alu instid0(SALU_CYCLE_1)
	s_mul_i32 s24, s40, s26
	s_add_co_i32 s45, s40, s45
	s_lshl_b64 s[46:47], s[40:41], 1
	s_add_nc_u64 s[38:39], s[38:39], s[24:25]
	s_mul_i32 s24, s40, s22
	s_cmp_ge_i32 s45, s44
	s_add_nc_u64 s[20:21], s[20:21], s[46:47]
	s_add_nc_u64 s[28:29], s[28:29], s[24:25]
	s_wait_loadcnt 0x1
	v_pk_fma_f16 v0, v156, v121, v0
	v_pk_fma_f16 v54, v152, v120, v54
	;; [unrolled: 1-line block ×5, first 2 shown]
	s_clause 0x1
	scratch_store_b128 off, v[80:83], off offset:96
	scratch_load_b128 v[76:79], off, off offset:96
	s_wait_loadcnt 0x1
	s_wait_xcnt 0x1
	v_pk_fma_f16 v82, v178, v251, v116
	v_pk_fma_f16 v83, v179, v251, v117
	;; [unrolled: 1-line block ×4, first 2 shown]
	s_clause 0x1
	scratch_store_b128 off, v[54:57], off offset:80
	scratch_load_b128 v[54:57], off, off offset:80
	v_pk_fma_f16 v1, v157, v121, v1
	v_pk_fma_f16 v2, v158, v121, v2
	v_pk_fma_f16 v3, v159, v121, v3
	s_wait_loadcnt 0x1
	v_pk_fma_f16 v76, v180, v67, v76
	v_pk_fma_f16 v77, v181, v67, v77
	;; [unrolled: 1-line block ×4, first 2 shown]
	s_clause 0x1
	scratch_store_b128 off, v[80:83], off offset:112
	scratch_load_b128 v[80:83], off, off offset:112
	s_wait_loadcnt 0x1
	v_pk_fma_f16 v54, v164, v121, v54
	v_pk_fma_f16 v55, v165, v121, v55
	s_clause 0x1
	scratch_store_b128 off, v[76:79], off offset:96
	scratch_load_b128 v[76:79], off, off offset:96
	v_pk_fma_f16 v56, v166, v121, v56
	v_pk_fma_f16 v57, v167, v121, v57
	s_wait_loadcnt 0x1
	v_pk_fma_f16 v80, v184, v67, v80
	v_pk_fma_f16 v81, v185, v67, v81
	v_pk_fma_f16 v82, v186, v67, v82
	v_pk_fma_f16 v83, v187, v67, v83
	s_wait_loadcnt 0x0
	v_pk_fma_f16 v76, v188, v9, v76
	v_pk_fma_f16 v77, v189, v9, v77
	v_pk_fma_f16 v78, v190, v9, v78
	v_pk_fma_f16 v79, v191, v9, v79
	s_clause 0x3
	scratch_store_b128 off, v[80:83], off offset:112
	scratch_load_b128 v[80:83], off, off offset:112
	scratch_store_b128 off, v[76:79], off offset:96
	scratch_load_b128 v[76:79], off, off offset:96
	s_wait_loadcnt 0x1
	v_pk_fma_f16 v80, v192, v9, v80
	v_pk_fma_f16 v81, v193, v9, v81
	v_pk_fma_f16 v82, v194, v9, v82
	v_pk_fma_f16 v83, v195, v9, v83
	s_wait_loadcnt 0x0
	v_pk_fma_f16 v76, v196, v47, v76
	v_pk_fma_f16 v77, v197, v47, v77
	v_pk_fma_f16 v78, v198, v47, v78
	v_pk_fma_f16 v79, v199, v47, v79
	s_clause 0x3
	scratch_store_b128 off, v[80:83], off offset:112
	scratch_load_b128 v[80:83], off, off offset:112
	scratch_store_b128 off, v[76:79], off offset:96
	scratch_load_b128 v[76:79], off, off offset:96
	;; [unrolled: 15-line block ×5, first 2 shown]
	s_wait_loadcnt 0x1
	v_pk_fma_f16 v80, v224, v120, v80
	v_pk_fma_f16 v81, v225, v120, v81
	;; [unrolled: 1-line block ×4, first 2 shown]
	s_wait_loadcnt 0x0
	v_pk_fma_f16 v76, v228, v121, v76
	v_pk_fma_f16 v77, v229, v121, v77
	;; [unrolled: 1-line block ×4, first 2 shown]
	s_clause 0x3
	scratch_store_b128 off, v[80:83], off offset:112
	scratch_load_b128 v[80:83], off, off offset:112
	scratch_store_b128 off, v[72:75], off
	scratch_store_b128 off, v[0:3], off offset:64
	s_wait_loadcnt 0x0
	v_pk_fma_f16 v0, v232, v121, v80
	v_pk_fma_f16 v1, v233, v121, v81
	;; [unrolled: 1-line block ×4, first 2 shown]
	s_clause 0x5
	scratch_store_b128 off, v[68:71], off offset:16
	scratch_store_b128 off, v[160:163], off offset:32
	;; [unrolled: 1-line block ×6, first 2 shown]
	s_cbranch_scc1 .LBB31_122
; %bb.120:                              ;   in Loop: Header=BB31_23 Depth=1
	v_dual_mov_b32 v67, v52 :: v_dual_mov_b32 v9, v53
	s_branch .LBB31_23
.LBB31_121:
	v_mov_b64_e32 v[52:53], 0xfefffffffeffffff
	v_mov_b64_e32 v[4:5], 0
.LBB31_122:
	s_cmp_lg_u64 s[12:13], 0
	v_cmp_gt_u32_e32 vcc_lo, 2, v62
	s_cselect_b32 s2, -1, 0
	s_cmp_eq_u32 s30, 0
	s_cselect_b32 s3, -1, 0
	s_delay_alu instid0(SALU_CYCLE_1) | instskip(NEXT) | instid1(SALU_CYCLE_1)
	s_and_b32 s2, s3, s2
	s_and_b32 s2, s2, vcc_lo
	s_wait_xcnt 0x0
	s_and_saveexec_b32 s3, s2
	s_cbranch_execz .LBB31_124
; %bb.123:
	v_dual_mov_b32 v0, s33 :: v_dual_lshlrev_b32 v21, 6, v62
	v_cmp_eq_u32_e32 vcc_lo, 1, v62
	global_load_b32 v20, v0, s[12:13] scale_offset
	s_clause 0x3
	scratch_load_b128 v[0:3], v21, off
	scratch_load_b128 v[8:11], v21, off offset:16
	scratch_load_b128 v[12:15], v21, off offset:32
	;; [unrolled: 1-line block ×3, first 2 shown]
	v_cndmask_b32_e32 v22, v52, v53, vcc_lo
	s_wait_loadcnt 0x4
	s_delay_alu instid0(VALU_DEP_1) | instskip(NEXT) | instid1(VALU_DEP_1)
	v_dual_max_num_f32 v23, v22, v22 :: v_dual_max_num_f32 v24, v20, v20
	v_max_num_f32_e32 v23, v24, v23
	s_delay_alu instid0(VALU_DEP_1) | instskip(NEXT) | instid1(VALU_DEP_1)
	v_sub_f32_e32 v20, v20, v23
	v_mul_f32_e32 v25, 0x3fb8aa3b, v20
	s_delay_alu instid0(VALU_DEP_1) | instskip(SKIP_2) | instid1(VALU_DEP_2)
	v_rndne_f32_e32 v29, v25
	v_sub_f32_e32 v22, v22, v23
	v_fma_f32 v28, 0x3fb8aa3b, v20, -v25
	v_dual_sub_f32 v25, v25, v29 :: v_dual_mul_f32 v24, 0x3fb8aa3b, v22
	s_delay_alu instid0(VALU_DEP_2) | instskip(SKIP_1) | instid1(VALU_DEP_3)
	v_dual_fmac_f32 v28, 0x32a5705f, v20 :: v_dual_cndmask_b32 v53, v53, v23
	v_cmp_ngt_f32_e64 s2, 0xc2ce8ed0, v22
	v_fma_f32 v26, 0x3fb8aa3b, v22, -v24
	v_rndne_f32_e32 v27, v24
	s_delay_alu instid0(VALU_DEP_2) | instskip(NEXT) | instid1(VALU_DEP_2)
	v_dual_add_f32 v25, v25, v28 :: v_dual_fmac_f32 v26, 0x32a5705f, v22
	v_sub_f32_e32 v24, v24, v27
	s_delay_alu instid0(VALU_DEP_2) | instskip(NEXT) | instid1(VALU_DEP_1)
	v_exp_f32_e32 v25, v25
	v_add_f32_e32 v24, v24, v26
	v_cvt_i32_f32_e32 v26, v27
	v_cvt_i32_f32_e32 v27, v29
	s_delay_alu instid0(VALU_DEP_3)
	v_exp_f32_e32 v24, v24
	s_delay_alu instid0(TRANS32_DEP_2) | instid1(VALU_DEP_1)
	v_ldexp_f32 v25, v25, v27
	s_delay_alu instid0(TRANS32_DEP_1) | instskip(NEXT) | instid1(VALU_DEP_1)
	v_ldexp_f32 v24, v24, v26
	v_cndmask_b32_e64 v24, 0, v24, s2
	v_cmp_ngt_f32_e64 s2, 0xc2ce8ed0, v20
	s_delay_alu instid0(VALU_DEP_1) | instskip(SKIP_1) | instid1(VALU_DEP_1)
	v_cndmask_b32_e64 v25, 0, v25, s2
	v_cmp_nlt_f32_e64 s2, 0x42b17218, v22
	v_cndmask_b32_e64 v22, 0x7f800000, v24, s2
	v_cmp_nlt_f32_e64 s2, 0x42b17218, v20
	s_delay_alu instid0(VALU_DEP_2) | instskip(NEXT) | instid1(VALU_DEP_2)
	v_cvt_f16_f32_e32 v24, v22
	v_cndmask_b32_e64 v20, 0x7f800000, v25, s2
	v_cmp_eq_u32_e64 s2, 0, v7
	v_cndmask_b32_e32 v25, v4, v5, vcc_lo
	s_delay_alu instid0(VALU_DEP_4) | instskip(NEXT) | instid1(VALU_DEP_3)
	v_and_b32_e32 v24, 0xffff, v24
	v_cndmask_b32_e64 v20, 0, v20, s2
	v_cmp_eq_u32_e64 s2, 0, v62
	s_delay_alu instid0(VALU_DEP_2) | instskip(NEXT) | instid1(VALU_DEP_4)
	v_fmac_f32_e32 v20, v25, v22
	v_mul_u32_u24_e32 v22, 0x10001, v24
	s_delay_alu instid0(VALU_DEP_2) | instskip(SKIP_1) | instid1(VALU_DEP_2)
	v_dual_cndmask_b32 v52, v52, v23, s2 :: v_dual_cndmask_b32 v5, v5, v20, vcc_lo
	s_wait_loadcnt 0x3
	v_pk_mul_f16 v0, v0, v22
	v_pk_mul_f16 v1, v1, v22
	;; [unrolled: 1-line block ×4, first 2 shown]
	v_cndmask_b32_e64 v4, v4, v20, s2
	s_wait_loadcnt 0x2
	v_pk_mul_f16 v8, v8, v22
	v_pk_mul_f16 v9, v9, v22
	v_pk_mul_f16 v10, v10, v22
	v_pk_mul_f16 v11, v11, v22
	s_wait_loadcnt 0x1
	v_pk_mul_f16 v12, v12, v22
	v_pk_mul_f16 v13, v13, v22
	v_pk_mul_f16 v14, v14, v22
	v_pk_mul_f16 v15, v15, v22
	;; [unrolled: 5-line block ×3, first 2 shown]
	s_clause 0x3
	scratch_store_b128 v21, v[0:3], off
	scratch_store_b128 v21, v[8:11], off offset:16
	scratch_store_b128 v21, v[12:15], off offset:32
	;; [unrolled: 1-line block ×3, first 2 shown]
.LBB31_124:
	s_wait_xcnt 0x0
	s_or_b32 exec_lo, exec_lo, s3
	v_add_nc_u32_e32 v3, 0x2100, v61
	v_or_b32_e32 v12, 0x2000, v61
	s_mov_b32 s2, exec_lo
	v_cmpx_eq_u32_e32 0, v62
	s_cbranch_execz .LBB31_126
; %bb.125:
	v_dual_mov_b32 v0, 0xfeffffff :: v_dual_mov_b32 v1, 0
	ds_store_2addr_b32 v12, v0, v0 offset1:32
	ds_store_2addr_b32 v3, v1, v1 offset1:32
.LBB31_126:
	s_or_b32 exec_lo, exec_lo, s2
	v_cmp_eq_u32_e64 s2, 0, v7
	s_wait_storecnt_dscnt 0x0
	s_barrier_signal -1
	s_barrier_wait -1
	s_and_saveexec_b32 s3, s2
; %bb.127:
	v_lshlrev_b32_e32 v0, 2, v62
	s_delay_alu instid0(VALU_DEP_1)
	v_add_nc_u32_e32 v0, 0x2000, v0
	ds_store_2addr_b32 v0, v52, v53 offset1:32
; %bb.128:
	s_or_b32 exec_lo, exec_lo, s3
	s_delay_alu instid0(SALU_CYCLE_1)
	s_and_not1_b32 vcc_lo, exec_lo, s43
	s_wait_dscnt 0x0
	s_barrier_signal -1
	s_barrier_wait -1
	s_cbranch_vccnz .LBB31_131
; %bb.129:
	s_add_nc_u64 s[4:5], s[0:1], 0xd0
	s_cbranch_execz .LBB31_132
; %bb.130:
	s_mov_b64 s[14:15], s[4:5]
	s_branch .LBB31_139
.LBB31_131:
                                        ; implicit-def: $sgpr4_sgpr5
.LBB31_132:
	ds_load_b32 v0, v12
	v_xor_b32_e32 v2, 8, v63
	v_xor_b32_e32 v1, 16, v63
	s_clause 0x3
	scratch_load_b128 v[14:17], off, off
	scratch_load_b128 v[18:21], off, off offset:16
	scratch_load_b128 v[22:25], off, off offset:32
	;; [unrolled: 1-line block ×3, first 2 shown]
	v_cmp_gt_i32_e32 vcc_lo, 32, v1
	s_load_b32 s3, s[0:1], 0xd4
	v_cndmask_b32_e32 v1, v63, v1, vcc_lo
	s_delay_alu instid0(VALU_DEP_1) | instskip(SKIP_4) | instid1(VALU_DEP_1)
	v_lshlrev_b32_e32 v10, 2, v1
	s_wait_dscnt 0x0
	ds_bpermute_b32 v1, v10, v0
	s_wait_dscnt 0x0
	v_dual_max_num_f32 v0, v0, v0 :: v_dual_max_num_f32 v1, v1, v1
	v_max_num_f32_e32 v0, v0, v1
	v_cmp_gt_i32_e32 vcc_lo, 32, v2
	v_cndmask_b32_e32 v2, v63, v2, vcc_lo
	s_delay_alu instid0(VALU_DEP_1) | instskip(SKIP_4) | instid1(VALU_DEP_1)
	v_dual_lshlrev_b32 v11, 2, v2 :: v_dual_bitop2_b32 v2, 4, v63 bitop3:0x14
	ds_bpermute_b32 v1, v11, v0
	v_cmp_gt_i32_e32 vcc_lo, 32, v2
	s_wait_dscnt 0x0
	v_dual_cndmask_b32 v2, v63, v2 :: v_dual_max_num_f32 v1, v1, v1
	v_dual_max_num_f32 v0, v0, v1 :: v_dual_lshlrev_b32 v9, 2, v2
	ds_bpermute_b32 v1, v9, v0
	s_wait_dscnt 0x0
	v_dual_max_num_f32 v1, v1, v1 :: v_dual_bitop2_b32 v2, 2, v63 bitop3:0x14
	s_delay_alu instid0(VALU_DEP_1) | instskip(NEXT) | instid1(VALU_DEP_2)
	v_cmp_gt_i32_e32 vcc_lo, 32, v2
	v_dual_max_num_f32 v0, v0, v1 :: v_dual_cndmask_b32 v2, v63, v2, vcc_lo
	s_delay_alu instid0(VALU_DEP_1) | instskip(SKIP_4) | instid1(VALU_DEP_1)
	v_dual_lshlrev_b32 v8, 2, v2 :: v_dual_bitop2_b32 v2, 1, v63 bitop3:0x14
	ds_bpermute_b32 v1, v8, v0
	v_cmp_gt_i32_e32 vcc_lo, 32, v2
	s_wait_dscnt 0x0
	v_dual_cndmask_b32 v2, v63, v2 :: v_dual_max_num_f32 v1, v1, v1
	v_dual_lshlrev_b32 v2, 2, v2 :: v_dual_max_num_f32 v0, v0, v1
	ds_bpermute_b32 v1, v2, v0
	s_wait_dscnt 0x0
	v_max_num_f32_e32 v1, v1, v1
	s_delay_alu instid0(VALU_DEP_1) | instskip(NEXT) | instid1(VALU_DEP_1)
	v_max_num_f32_e32 v0, v0, v1
	v_sub_f32_e32 v1, v52, v0
	s_delay_alu instid0(VALU_DEP_1) | instskip(NEXT) | instid1(VALU_DEP_1)
	v_mul_f32_e32 v13, 0x3fb8aa3b, v1
	v_fma_f32 v30, 0x3fb8aa3b, v1, -v13
	v_rndne_f32_e32 v31, v13
	s_delay_alu instid0(VALU_DEP_1) | instskip(SKIP_1) | instid1(VALU_DEP_4)
	v_sub_f32_e32 v13, v13, v31
	v_cmp_ngt_f32_e32 vcc_lo, 0xc2ce8ed0, v1
	v_fmamk_f32 v30, v1, 0x32a5705f, v30
	s_delay_alu instid0(VALU_DEP_1) | instskip(SKIP_1) | instid1(VALU_DEP_2)
	v_add_f32_e32 v13, v13, v30
	v_cvt_i32_f32_e32 v30, v31
	v_exp_f32_e32 v13, v13
	v_nop
	s_delay_alu instid0(TRANS32_DEP_1) | instskip(NEXT) | instid1(VALU_DEP_1)
	v_ldexp_f32 v13, v13, v30
	v_cndmask_b32_e32 v13, 0, v13, vcc_lo
	v_cmp_nlt_f32_e32 vcc_lo, 0x42b17218, v1
	s_delay_alu instid0(VALU_DEP_2) | instskip(NEXT) | instid1(VALU_DEP_1)
	v_cndmask_b32_e32 v1, 0x7f800000, v13, vcc_lo
	v_mul_f32_e32 v13, v4, v1
	ds_bpermute_b32 v13, v10, v13
	s_wait_dscnt 0x0
	v_fmac_f32_e32 v13, v4, v1
	ds_bpermute_b32 v4, v11, v13
	s_wait_dscnt 0x0
	v_add_f32_e32 v4, v13, v4
	v_cvt_f16_f32_e32 v1, v1
	ds_bpermute_b32 v13, v9, v4
	v_and_b32_e32 v1, 0xffff, v1
	s_delay_alu instid0(VALU_DEP_1)
	v_mul_u32_u24_e32 v32, 0x10001, v1
	s_wait_dscnt 0x0
	v_dual_add_f32 v4, v4, v13 :: v_dual_lshlrev_b32 v13, 6, v7
	ds_bpermute_b32 v30, v8, v4
	v_and_b32_e32 v31, 0x1e00, v13
	v_lshl_add_u32 v13, v62, 2, 0x2100
	s_wait_loadcnt 0x3
	v_pk_mul_f16 v14, v14, v32
	v_pk_mul_f16 v15, v15, v32
	v_pk_mul_f16 v16, v16, v32
	v_lshl_add_u32 v31, v62, 11, v31
	v_pk_mul_f16 v17, v17, v32
	s_wait_loadcnt 0x2
	v_pk_mul_f16 v18, v18, v32
	v_pk_mul_f16 v19, v19, v32
	;; [unrolled: 1-line block ×3, first 2 shown]
	v_lshl_or_b32 v6, v6, 2, v31
	v_pk_mul_f16 v21, v21, v32
	s_wait_loadcnt 0x1
	v_pk_mul_f16 v22, v22, v32
	v_pk_mul_f16 v23, v23, v32
	;; [unrolled: 1-line block ×4, first 2 shown]
	s_wait_loadcnt 0x0
	v_pk_mul_f16 v26, v26, v32
	v_pk_mul_f16 v27, v27, v32
	;; [unrolled: 1-line block ×3, first 2 shown]
	s_wait_dscnt 0x0
	v_add_f32_e32 v1, v4, v30
	v_pk_mul_f16 v29, v29, v32
	s_clause 0x3
	scratch_store_b128 off, v[14:17], off
	scratch_store_b128 off, v[18:21], off offset:16
	scratch_store_b128 off, v[22:25], off offset:32
	;; [unrolled: 1-line block ×3, first 2 shown]
	ds_store_b128 v6, v[14:17]
	ds_store_b128 v6, v[18:21] offset:128
	ds_store_b128 v6, v[22:25] offset:256
	;; [unrolled: 1-line block ×3, first 2 shown]
	ds_bpermute_b32 v4, v2, v1
	s_wait_xcnt 0x0
	s_and_saveexec_b32 s0, s2
	s_cbranch_execz .LBB31_134
; %bb.133:
	s_wait_dscnt 0x0
	v_add_f32_e32 v1, v1, v4
	ds_store_b32 v13, v1
.LBB31_134:
	s_or_b32 exec_lo, exec_lo, s0
	s_wait_storecnt_dscnt 0x0
	s_barrier_signal -1
	s_barrier_wait -1
	ds_load_b32 v1, v3
	ds_load_u16 v4, v59
	ds_load_u16 v14, v59 offset:1280
	ds_load_u16 v15, v59 offset:768
	;; [unrolled: 1-line block ×5, first 2 shown]
	s_wait_kmcnt 0x0
	s_cmp_eq_u32 s3, 1
	s_mul_i32 s1, s36, s34
	s_wait_dscnt 0x6
	ds_bpermute_b32 v17, v10, v1
	s_wait_dscnt 0x6
	v_cvt_f32_f16_e32 v4, v4
	s_wait_dscnt 0x5
	v_cvt_f32_f16_e32 v14, v14
	;; [unrolled: 2-line block ×6, first 2 shown]
	v_add_f32_e32 v4, 0, v4
	s_delay_alu instid0(VALU_DEP_1)
	v_dual_add_f32 v16, 0, v16 :: v_dual_add_f32 v4, v4, v18
	s_wait_dscnt 0x0
	v_add_f32_e32 v1, v1, v17
	ds_load_u16 v17, v59 offset:1536
	ds_load_u16 v21, v59 offset:2048
	;; [unrolled: 1-line block ×9, first 2 shown]
	ds_bpermute_b32 v20, v11, v1
	v_add_f32_e32 v15, v16, v15
	s_wait_dscnt 0x8
	v_cvt_f32_f16_e32 v16, v21
	s_wait_dscnt 0x7
	v_cvt_f32_f16_e32 v22, v22
	s_wait_dscnt 0x6
	v_cvt_f32_f16_e32 v23, v23
	v_cvt_f32_f16_e32 v17, v17
	s_wait_dscnt 0x3
	v_cvt_f32_f16_e32 v18, v18
	v_cvt_f32_f16_e32 v24, v24
	s_wait_dscnt 0x2
	v_cvt_f32_f16_e32 v26, v26
	s_wait_dscnt 0x0
	v_dual_add_f32 v1, v1, v20 :: v_dual_add_f32 v4, v4, v19
	v_add_f32_e32 v14, v15, v14
	v_cvt_f32_f16_e32 v19, v25
	ds_bpermute_b32 v15, v9, v1
	v_add_f32_e32 v4, v4, v17
	ds_load_u16 v17, v59 offset:4096
	ds_load_u16 v20, v59 offset:4608
	;; [unrolled: 1-line block ×8, first 2 shown]
	v_dual_add_f32 v14, v14, v19 :: v_dual_add_f32 v4, v4, v16
	ds_load_u16 v16, v59 offset:7424
	ds_load_u16 v19, v59 offset:6912
	;; [unrolled: 1-line block ×4, first 2 shown]
	s_wait_dscnt 0xa
	v_cvt_f32_f16_e32 v20, v20
	s_wait_dscnt 0x9
	v_cvt_f32_f16_e32 v21, v21
	v_dual_add_f32 v1, v1, v15 :: v_dual_add_f32 v14, v14, v24
	v_add_f32_e32 v4, v4, v18
	v_cvt_f32_f16_e32 v18, v27
	v_cvt_f32_f16_e32 v15, v17
	s_wait_dscnt 0x5
	v_cvt_f32_f16_e32 v17, v30
	v_dual_add_f32 v14, v14, v23 :: v_dual_add_f32 v4, v4, v26
	ds_bpermute_b32 v23, v8, v1
	v_cvt_f32_f16_e32 v26, v28
	v_add_f32_e32 v4, v4, v18
	v_add_f32_e32 v14, v14, v22
	ds_load_u16 v18, v59 offset:6144
	v_cvt_f32_f16_e32 v22, v29
	v_dual_add_f32 v4, v4, v15 :: v_dual_add_f32 v14, v14, v17
	ds_load_u16 v15, v59 offset:6656
	ds_load_u16 v17, v59 offset:7168
	ds_load_u16 v24, v59 offset:7680
	v_dual_add_f32 v4, v4, v20 :: v_dual_add_f32 v14, v14, v22
	v_cvt_f32_f16_e32 v22, v25
	s_wait_dscnt 0x9
	v_cvt_f32_f16_e32 v25, v31
	ds_load_u16 v20, v59 offset:7936
	v_dual_add_f32 v4, v4, v21 :: v_dual_add_f32 v14, v14, v26
	s_wait_dscnt 0x5
	v_add_f32_e32 v1, v1, v23
	v_cvt_f32_f16_e32 v21, v33
	v_cvt_f32_f16_e32 v23, v32
	v_add_f32_e32 v14, v14, v22
	s_wait_dscnt 0x4
	v_cvt_f32_f16_e32 v18, v18
	ds_bpermute_b32 v22, v2, v1
	s_wait_dscnt 0x4
	v_cvt_f32_f16_e32 v15, v15
	v_add_f32_e32 v14, v14, v21
	v_add_f32_e32 v4, v4, v25
	s_wait_dscnt 0x3
	v_cvt_f32_f16_e32 v17, v17
	s_delay_alu instid0(VALU_DEP_2) | instskip(SKIP_1) | instid1(VALU_DEP_1)
	v_dual_add_f32 v14, v14, v23 :: v_dual_add_f32 v4, v4, v18
	v_cvt_f32_f16_e32 v18, v19
	v_dual_add_f32 v4, v4, v15 :: v_dual_add_f32 v14, v14, v18
	v_cvt_f32_f16_e32 v15, v16
	s_wait_dscnt 0x2
	v_cvt_f32_f16_e32 v16, v24
	s_delay_alu instid0(VALU_DEP_3) | instskip(SKIP_2) | instid1(VALU_DEP_2)
	v_add_f32_e32 v4, v4, v17
	s_wait_dscnt 0x1
	v_cvt_f32_f16_e32 v17, v20
	v_dual_add_f32 v14, v14, v15 :: v_dual_add_f32 v15, v4, v16
	s_wait_dscnt 0x0
	s_delay_alu instid0(VALU_DEP_1) | instskip(NEXT) | instid1(VALU_DEP_1)
	v_dual_add_f32 v4, v1, v22 :: v_dual_add_f32 v1, v14, v17
	v_div_scale_f32 v14, null, v4, v4, v15
	v_div_scale_f32 v21, vcc_lo, v15, v4, v15
	s_delay_alu instid0(VALU_DEP_2) | instskip(SKIP_1) | instid1(TRANS32_DEP_1)
	v_rcp_f32_e32 v17, v14
	v_nop
	v_fma_f32 v19, -v14, v17, 1.0
	s_delay_alu instid0(VALU_DEP_1) | instskip(SKIP_2) | instid1(VALU_DEP_2)
	v_fmac_f32_e32 v17, v19, v17
	v_div_scale_f32 v16, null, v4, v4, v1
	v_div_scale_f32 v19, s0, v1, v4, v1
	v_rcp_f32_e32 v18, v16
	v_nop
	s_delay_alu instid0(TRANS32_DEP_1) | instskip(NEXT) | instid1(VALU_DEP_1)
	v_fma_f32 v20, -v16, v18, 1.0
	v_dual_fmac_f32 v18, v20, v18 :: v_dual_mul_f32 v20, v21, v17
	s_delay_alu instid0(VALU_DEP_1) | instskip(NEXT) | instid1(VALU_DEP_1)
	v_dual_mul_f32 v22, v19, v18 :: v_dual_fma_f32 v23, -v14, v20, v21
	v_dual_fma_f32 v24, -v16, v22, v19 :: v_dual_fmac_f32 v20, v23, v17
	s_delay_alu instid0(VALU_DEP_1) | instskip(NEXT) | instid1(VALU_DEP_1)
	v_dual_fmac_f32 v22, v24, v18 :: v_dual_fma_f32 v14, -v14, v20, v21
	v_fma_f32 v16, -v16, v22, v19
	s_delay_alu instid0(VALU_DEP_2)
	v_div_fmas_f32 v14, v14, v17, v20
	s_mov_b32 vcc_lo, s0
	s_cselect_b32 s0, -1, 0
	s_add_co_i32 s1, s1, s42
	v_div_fmas_f32 v16, v16, v18, v22
	s_mul_i32 s4, s1, s35
	v_div_fixup_f32 v14, v14, v4, v15
	s_add_co_i32 s4, s4, s33
	v_cmp_ne_u32_e32 vcc_lo, 1, v60
	v_div_fixup_f32 v16, v16, v4, v1
	s_mul_i32 s1, s3, s4
	v_cndmask_b32_e64 v14, v15, v14, s0
	s_add_co_i32 s1, s1, s30
	s_and_b32 vcc_lo, exec_lo, vcc_lo
	v_lshl_or_b32 v15, s1, 8, v58
	v_cndmask_b32_e64 v16, v1, v16, s0
	v_mov_b32_e32 v1, v53
	s_clause 0x1
	global_store_b32 v15, v14, s[16:17] scale_offset
	global_store_b32 v15, v16, s[16:17] offset:512 scale_offset
	s_wait_storecnt 0x0
	s_barrier_signal -1
	s_barrier_wait -1
	s_cbranch_vccnz .LBB31_138
; %bb.135:
	ds_load_b32 v1, v12 offset:128
	s_clause 0x3
	scratch_load_b128 v[14:17], off, off offset:64
	scratch_load_b128 v[18:21], off, off offset:80
	;; [unrolled: 1-line block ×4, first 2 shown]
	v_or_b32_e32 v33, 0x100, v6
	s_wait_dscnt 0x0
	ds_bpermute_b32 v12, v10, v1
	s_wait_dscnt 0x0
	v_dual_max_num_f32 v1, v1, v1 :: v_dual_max_num_f32 v12, v12, v12
	s_delay_alu instid0(VALU_DEP_1) | instskip(SKIP_3) | instid1(VALU_DEP_1)
	v_max_num_f32_e32 v1, v1, v12
	ds_bpermute_b32 v12, v11, v1
	s_wait_dscnt 0x0
	v_max_num_f32_e32 v12, v12, v12
	v_max_num_f32_e32 v1, v1, v12
	ds_bpermute_b32 v12, v9, v1
	s_wait_dscnt 0x0
	v_max_num_f32_e32 v12, v12, v12
	s_delay_alu instid0(VALU_DEP_1) | instskip(SKIP_3) | instid1(VALU_DEP_1)
	v_max_num_f32_e32 v1, v1, v12
	ds_bpermute_b32 v12, v8, v1
	s_wait_dscnt 0x0
	v_max_num_f32_e32 v12, v12, v12
	v_max_num_f32_e32 v1, v1, v12
	ds_bpermute_b32 v12, v2, v1
	s_wait_dscnt 0x0
	v_max_num_f32_e32 v12, v12, v12
	s_delay_alu instid0(VALU_DEP_1) | instskip(NEXT) | instid1(VALU_DEP_1)
	v_max_num_f32_e32 v1, v1, v12
	v_sub_f32_e32 v12, v53, v1
	s_delay_alu instid0(VALU_DEP_1) | instskip(NEXT) | instid1(VALU_DEP_1)
	v_mul_f32_e32 v30, 0x3fb8aa3b, v12
	v_fma_f32 v31, 0x3fb8aa3b, v12, -v30
	v_rndne_f32_e32 v32, v30
	s_delay_alu instid0(VALU_DEP_1) | instskip(SKIP_1) | instid1(VALU_DEP_4)
	v_sub_f32_e32 v30, v30, v32
	v_cmp_ngt_f32_e32 vcc_lo, 0xc2ce8ed0, v12
	v_fmamk_f32 v31, v12, 0x32a5705f, v31
	s_delay_alu instid0(VALU_DEP_1) | instskip(SKIP_2) | instid1(VALU_DEP_3)
	v_add_f32_e32 v30, v30, v31
	v_cvt_i32_f32_e32 v31, v32
	v_or_b32_e32 v32, 0x80, v6
	v_exp_f32_e32 v30, v30
	v_nop
	s_delay_alu instid0(TRANS32_DEP_1) | instskip(NEXT) | instid1(VALU_DEP_1)
	v_ldexp_f32 v30, v30, v31
	v_cndmask_b32_e32 v30, 0, v30, vcc_lo
	v_cmp_nlt_f32_e32 vcc_lo, 0x42b17218, v12
	s_delay_alu instid0(VALU_DEP_2) | instskip(NEXT) | instid1(VALU_DEP_1)
	v_cndmask_b32_e32 v12, 0x7f800000, v30, vcc_lo
	v_mul_f32_e32 v30, v5, v12
	ds_bpermute_b32 v30, v10, v30
	s_wait_dscnt 0x0
	v_fmac_f32_e32 v30, v5, v12
	ds_bpermute_b32 v5, v11, v30
	s_wait_dscnt 0x0
	v_add_f32_e32 v5, v30, v5
	v_cvt_f16_f32_e32 v12, v12
	ds_bpermute_b32 v30, v9, v5
	v_and_b32_e32 v12, 0xffff, v12
	s_delay_alu instid0(VALU_DEP_1)
	v_mul_u32_u24_e32 v31, 0x10001, v12
	s_wait_dscnt 0x0
	v_add_f32_e32 v5, v5, v30
	ds_bpermute_b32 v30, v8, v5
	s_wait_loadcnt 0x2
	v_pk_mul_f16 v18, v18, v31
	s_wait_dscnt 0x0
	v_add_f32_e32 v5, v5, v30
	v_pk_mul_f16 v14, v14, v31
	v_pk_mul_f16 v15, v15, v31
	;; [unrolled: 1-line block ×4, first 2 shown]
	ds_bpermute_b32 v12, v2, v5
	v_pk_mul_f16 v19, v19, v31
	v_pk_mul_f16 v20, v20, v31
	;; [unrolled: 1-line block ×3, first 2 shown]
	s_wait_loadcnt 0x1
	v_pk_mul_f16 v22, v22, v31
	v_pk_mul_f16 v23, v23, v31
	v_pk_mul_f16 v24, v24, v31
	v_pk_mul_f16 v25, v25, v31
	s_wait_loadcnt 0x0
	v_pk_mul_f16 v26, v26, v31
	v_pk_mul_f16 v27, v27, v31
	;; [unrolled: 1-line block ×4, first 2 shown]
	v_or_b32_e32 v30, 0x180, v6
	s_clause 0x3
	scratch_store_b128 off, v[14:17], off offset:64
	scratch_store_b128 off, v[18:21], off offset:80
	;; [unrolled: 1-line block ×4, first 2 shown]
	ds_store_b128 v6, v[14:17]
	ds_store_b128 v32, v[18:21]
	;; [unrolled: 1-line block ×4, first 2 shown]
	s_wait_xcnt 0x0
	s_and_saveexec_b32 s1, s2
	s_cbranch_execz .LBB31_137
; %bb.136:
	s_wait_dscnt 0x4
	v_add_f32_e32 v5, v5, v12
	ds_store_b32 v13, v5 offset:128
.LBB31_137:
	s_or_b32 exec_lo, exec_lo, s1
	s_wait_storecnt_dscnt 0x0
	s_barrier_signal -1
	s_barrier_wait -1
	ds_load_b32 v3, v3 offset:128
	ds_load_u16 v5, v59
	ds_load_u16 v6, v59 offset:1280
	ds_load_u16 v12, v59 offset:768
	ds_load_u16 v13, v59 offset:256
	ds_load_u16 v14, v59 offset:512
	ds_load_u16 v15, v59 offset:1024
	s_add_co_i32 s4, s4, s35
	s_wait_dscnt 0x6
	ds_bpermute_b32 v10, v10, v3
	s_wait_dscnt 0x6
	v_cvt_f32_f16_e32 v5, v5
	s_wait_dscnt 0x5
	v_cvt_f32_f16_e32 v6, v6
	s_wait_dscnt 0x4
	v_cvt_f32_f16_e32 v12, v12
	s_wait_dscnt 0x3
	v_cvt_f32_f16_e32 v13, v13
	s_wait_dscnt 0x2
	v_cvt_f32_f16_e32 v14, v14
	s_wait_dscnt 0x1
	v_cvt_f32_f16_e32 v15, v15
	v_add_f32_e32 v5, 0, v5
	s_delay_alu instid0(VALU_DEP_1)
	v_dual_add_f32 v13, 0, v13 :: v_dual_add_f32 v5, v5, v14
	s_wait_dscnt 0x0
	v_add_f32_e32 v3, v3, v10
	ds_load_u16 v10, v59 offset:1536
	ds_load_u16 v16, v59 offset:2048
	;; [unrolled: 1-line block ×9, first 2 shown]
	ds_bpermute_b32 v11, v11, v3
	v_add_f32_e32 v12, v13, v12
	s_wait_dscnt 0x7
	v_cvt_f32_f16_e32 v17, v17
	s_wait_dscnt 0x6
	v_cvt_f32_f16_e32 v18, v18
	v_cvt_f32_f16_e32 v10, v10
	s_wait_dscnt 0x4
	v_cvt_f32_f16_e32 v13, v20
	s_wait_dscnt 0x3
	v_cvt_f32_f16_e32 v14, v14
	v_cvt_f32_f16_e32 v19, v19
	s_wait_dscnt 0x0
	v_add_f32_e32 v3, v3, v11
	v_dual_add_f32 v5, v5, v15 :: v_dual_add_f32 v6, v12, v6
	v_cvt_f32_f16_e32 v11, v16
	v_cvt_f32_f16_e32 v21, v21
	ds_bpermute_b32 v9, v9, v3
	v_dual_add_f32 v5, v5, v10 :: v_dual_add_f32 v6, v6, v13
	ds_load_u16 v10, v59 offset:4096
	ds_load_u16 v12, v59 offset:4608
	;; [unrolled: 1-line block ×8, first 2 shown]
	v_add_f32_e32 v5, v5, v11
	ds_load_u16 v11, v59 offset:7424
	ds_load_u16 v13, v59 offset:6912
	;; [unrolled: 1-line block ×4, first 2 shown]
	s_wait_dscnt 0xa
	v_cvt_f32_f16_e32 v12, v12
	s_wait_dscnt 0x9
	v_cvt_f32_f16_e32 v15, v15
	;; [unrolled: 2-line block ×3, first 2 shown]
	v_dual_add_f32 v3, v3, v9 :: v_dual_add_f32 v6, v6, v19
	v_add_f32_e32 v5, v5, v14
	v_cvt_f32_f16_e32 v14, v22
	v_cvt_f32_f16_e32 v9, v10
	ds_bpermute_b32 v8, v8, v3
	v_dual_add_f32 v6, v6, v18 :: v_dual_add_f32 v5, v5, v21
	s_wait_dscnt 0x6
	v_cvt_f32_f16_e32 v10, v24
	v_cvt_f32_f16_e32 v19, v20
	s_delay_alu instid0(VALU_DEP_3)
	v_dual_add_f32 v6, v6, v17 :: v_dual_add_f32 v5, v5, v14
	ds_load_u16 v14, v59 offset:6144
	v_cvt_f32_f16_e32 v17, v23
	v_dual_add_f32 v6, v6, v10 :: v_dual_add_f32 v5, v5, v9
	ds_load_u16 v9, v59 offset:6656
	ds_load_u16 v10, v59 offset:7168
	;; [unrolled: 1-line block ×3, first 2 shown]
	v_dual_add_f32 v6, v6, v17 :: v_dual_add_f32 v5, v5, v12
	s_wait_dscnt 0x9
	v_cvt_f32_f16_e32 v17, v25
	ds_load_u16 v12, v59 offset:7936
	s_wait_dscnt 0x5
	v_dual_add_f32 v3, v3, v8 :: v_dual_add_f32 v6, v6, v19
	v_add_f32_e32 v5, v5, v15
	v_cvt_f32_f16_e32 v8, v27
	v_cvt_f32_f16_e32 v15, v26
	ds_bpermute_b32 v2, v2, v3
	v_dual_add_f32 v6, v6, v16 :: v_dual_add_f32 v5, v5, v17
	s_wait_dscnt 0x5
	v_cvt_f32_f16_e32 v14, v14
	s_delay_alu instid0(VALU_DEP_2) | instskip(SKIP_2) | instid1(VALU_DEP_3)
	v_add_f32_e32 v6, v6, v8
	s_wait_dscnt 0x4
	v_cvt_f32_f16_e32 v8, v9
	v_add_f32_e32 v5, v5, v14
	v_cvt_f32_f16_e32 v9, v13
	s_wait_dscnt 0x3
	v_cvt_f32_f16_e32 v10, v10
	s_delay_alu instid0(VALU_DEP_3) | instskip(SKIP_1) | instid1(VALU_DEP_2)
	v_dual_add_f32 v6, v6, v15 :: v_dual_add_f32 v5, v5, v8
	v_cvt_f32_f16_e32 v8, v11
	v_add_f32_e32 v6, v6, v9
	s_wait_dscnt 0x2
	v_cvt_f32_f16_e32 v9, v18
	v_add_f32_e32 v5, v5, v10
	s_wait_dscnt 0x1
	v_cvt_f32_f16_e32 v10, v12
	s_delay_alu instid0(VALU_DEP_2) | instskip(SKIP_2) | instid1(VALU_DEP_1)
	v_dual_add_f32 v6, v6, v8 :: v_dual_add_f32 v8, v5, v9
	s_wait_dscnt 0x0
	v_add_f32_e32 v5, v3, v2
	v_div_scale_f32 v3, null, v5, v5, v8
	v_div_scale_f32 v13, vcc_lo, v8, v5, v8
	s_delay_alu instid0(VALU_DEP_2) | instskip(SKIP_1) | instid1(TRANS32_DEP_1)
	v_rcp_f32_e32 v9, v3
	v_nop
	v_fma_f32 v11, -v3, v9, 1.0
	s_delay_alu instid0(VALU_DEP_1) | instskip(NEXT) | instid1(VALU_DEP_1)
	v_dual_add_f32 v2, v6, v10 :: v_dual_fmac_f32 v9, v11, v9
	v_div_scale_f32 v6, null, v5, v5, v2
	v_div_scale_f32 v11, s1, v2, v5, v2
	s_delay_alu instid0(VALU_DEP_2) | instskip(SKIP_1) | instid1(TRANS32_DEP_1)
	v_rcp_f32_e32 v10, v6
	v_nop
	v_fma_f32 v12, -v6, v10, 1.0
	s_delay_alu instid0(VALU_DEP_1) | instskip(NEXT) | instid1(VALU_DEP_1)
	v_dual_fmac_f32 v10, v12, v10 :: v_dual_mul_f32 v12, v13, v9
	v_fma_f32 v15, -v3, v12, v13
	s_delay_alu instid0(VALU_DEP_1) | instskip(NEXT) | instid1(VALU_DEP_1)
	v_fmac_f32_e32 v12, v15, v9
	v_fma_f32 v3, -v3, v12, v13
	s_delay_alu instid0(VALU_DEP_1) | instskip(SKIP_2) | instid1(SALU_CYCLE_1)
	v_div_fmas_f32 v3, v3, v9, v12
	s_mov_b32 vcc_lo, s1
	s_mul_i32 s1, s3, s4
	s_add_co_i32 s1, s1, s30
	s_delay_alu instid0(VALU_DEP_1) | instskip(SKIP_2) | instid1(VALU_DEP_2)
	v_div_fixup_f32 v3, v3, v5, v8
	v_mul_f32_e32 v14, v11, v10
	v_lshl_or_b32 v9, s1, 8, v58
	v_dual_cndmask_b32 v3, v8, v3, s0 :: v_dual_fma_f32 v16, -v6, v14, v11
	s_delay_alu instid0(VALU_DEP_1) | instskip(NEXT) | instid1(VALU_DEP_1)
	v_fmac_f32_e32 v14, v16, v10
	v_fma_f32 v6, -v6, v14, v11
	s_delay_alu instid0(VALU_DEP_1) | instskip(NEXT) | instid1(VALU_DEP_1)
	v_div_fmas_f32 v6, v6, v10, v14
	v_div_fixup_f32 v6, v6, v5, v2
	s_delay_alu instid0(VALU_DEP_1)
	v_cndmask_b32_e64 v2, v2, v6, s0
	s_clause 0x1
	global_store_b32 v9, v3, s[16:17] scale_offset
	global_store_b32 v9, v2, s[16:17] offset:512 scale_offset
.LBB31_138:
	v_mov_b64_e32 v[52:53], v[0:1]
.LBB31_139:
	s_load_b32 s1, s[14:15], 0x4
	v_or_b32_e32 v0, s42, v7
	v_cmp_gt_u32_e32 vcc_lo, 2, v58
	s_delay_alu instid0(VALU_DEP_2) | instskip(SKIP_3) | instid1(SALU_CYCLE_1)
	v_cmp_gt_i32_e64 s0, s34, v0
	s_wait_kmcnt 0x0
	s_cmp_lg_u32 s1, 1
	s_cselect_b32 s2, -1, 0
	s_and_b32 s2, s2, vcc_lo
	s_delay_alu instid0(SALU_CYCLE_1) | instskip(NEXT) | instid1(SALU_CYCLE_1)
	s_and_b32 s0, s2, s0
	s_and_saveexec_b32 s2, s0
	s_cbranch_execz .LBB31_141
; %bb.140:
	v_mad_u32 v0, s36, s34, v0
	v_cmp_eq_u32_e32 vcc_lo, 1, v58
	v_cndmask_b32_e32 v1, v4, v5, vcc_lo
	s_delay_alu instid0(VALU_DEP_3) | instskip(NEXT) | instid1(VALU_DEP_1)
	v_mad_u32 v0, v0, s35, s33
	v_mad_u32 v2, s1, v0, s30
	v_cndmask_b32_e32 v0, v52, v53, vcc_lo
	global_store_b64 v2, v[0:1], s[18:19] scale_offset
.LBB31_141:
	s_sendmsg sendmsg(MSG_DEALLOC_VGPRS)
	s_endpgm
	.section	.rodata,"a",@progbits
	.p2align	6, 0x0
	.amdhsa_kernel _ZL18flash_attn_ext_vecILi256ELi2EL9ggml_type1ELS0_1ELb1EEvPKcS2_S2_S2_S2_PKiPfP15HIP_vector_typeIfLj2EEffffjfiS6_IjLj3EEiiiiiiiiiiiliiliiiiil
		.amdhsa_group_segment_fixed_size 8704
		.amdhsa_private_segment_fixed_size 144
		.amdhsa_kernarg_size 464
		.amdhsa_user_sgpr_count 2
		.amdhsa_user_sgpr_dispatch_ptr 0
		.amdhsa_user_sgpr_queue_ptr 0
		.amdhsa_user_sgpr_kernarg_segment_ptr 1
		.amdhsa_user_sgpr_dispatch_id 0
		.amdhsa_user_sgpr_kernarg_preload_length 0
		.amdhsa_user_sgpr_kernarg_preload_offset 0
		.amdhsa_user_sgpr_private_segment_size 0
		.amdhsa_wavefront_size32 1
		.amdhsa_uses_dynamic_stack 0
		.amdhsa_enable_private_segment 1
		.amdhsa_system_sgpr_workgroup_id_x 1
		.amdhsa_system_sgpr_workgroup_id_y 1
		.amdhsa_system_sgpr_workgroup_id_z 1
		.amdhsa_system_sgpr_workgroup_info 0
		.amdhsa_system_vgpr_workitem_id 1
		.amdhsa_next_free_vgpr 252
		.amdhsa_next_free_sgpr 52
		.amdhsa_named_barrier_count 0
		.amdhsa_reserve_vcc 1
		.amdhsa_float_round_mode_32 0
		.amdhsa_float_round_mode_16_64 0
		.amdhsa_float_denorm_mode_32 3
		.amdhsa_float_denorm_mode_16_64 3
		.amdhsa_fp16_overflow 0
		.amdhsa_memory_ordered 1
		.amdhsa_forward_progress 1
		.amdhsa_inst_pref_size 170
		.amdhsa_round_robin_scheduling 0
		.amdhsa_exception_fp_ieee_invalid_op 0
		.amdhsa_exception_fp_denorm_src 0
		.amdhsa_exception_fp_ieee_div_zero 0
		.amdhsa_exception_fp_ieee_overflow 0
		.amdhsa_exception_fp_ieee_underflow 0
		.amdhsa_exception_fp_ieee_inexact 0
		.amdhsa_exception_int_div_zero 0
	.end_amdhsa_kernel
	.section	.text._ZL18flash_attn_ext_vecILi256ELi2EL9ggml_type1ELS0_1ELb1EEvPKcS2_S2_S2_S2_PKiPfP15HIP_vector_typeIfLj2EEffffjfiS6_IjLj3EEiiiiiiiiiiiliiliiiiil,"axG",@progbits,_ZL18flash_attn_ext_vecILi256ELi2EL9ggml_type1ELS0_1ELb1EEvPKcS2_S2_S2_S2_PKiPfP15HIP_vector_typeIfLj2EEffffjfiS6_IjLj3EEiiiiiiiiiiiliiliiiiil,comdat
.Lfunc_end31:
	.size	_ZL18flash_attn_ext_vecILi256ELi2EL9ggml_type1ELS0_1ELb1EEvPKcS2_S2_S2_S2_PKiPfP15HIP_vector_typeIfLj2EEffffjfiS6_IjLj3EEiiiiiiiiiiiliiliiiiil, .Lfunc_end31-_ZL18flash_attn_ext_vecILi256ELi2EL9ggml_type1ELS0_1ELb1EEvPKcS2_S2_S2_S2_PKiPfP15HIP_vector_typeIfLj2EEffffjfiS6_IjLj3EEiiiiiiiiiiiliiliiiiil
                                        ; -- End function
	.set _ZL18flash_attn_ext_vecILi256ELi2EL9ggml_type1ELS0_1ELb1EEvPKcS2_S2_S2_S2_PKiPfP15HIP_vector_typeIfLj2EEffffjfiS6_IjLj3EEiiiiiiiiiiiliiliiiiil.num_vgpr, 252
	.set _ZL18flash_attn_ext_vecILi256ELi2EL9ggml_type1ELS0_1ELb1EEvPKcS2_S2_S2_S2_PKiPfP15HIP_vector_typeIfLj2EEffffjfiS6_IjLj3EEiiiiiiiiiiiliiliiiiil.num_agpr, 0
	.set _ZL18flash_attn_ext_vecILi256ELi2EL9ggml_type1ELS0_1ELb1EEvPKcS2_S2_S2_S2_PKiPfP15HIP_vector_typeIfLj2EEffffjfiS6_IjLj3EEiiiiiiiiiiiliiliiiiil.numbered_sgpr, 52
	.set _ZL18flash_attn_ext_vecILi256ELi2EL9ggml_type1ELS0_1ELb1EEvPKcS2_S2_S2_S2_PKiPfP15HIP_vector_typeIfLj2EEffffjfiS6_IjLj3EEiiiiiiiiiiiliiliiiiil.num_named_barrier, 0
	.set _ZL18flash_attn_ext_vecILi256ELi2EL9ggml_type1ELS0_1ELb1EEvPKcS2_S2_S2_S2_PKiPfP15HIP_vector_typeIfLj2EEffffjfiS6_IjLj3EEiiiiiiiiiiiliiliiiiil.private_seg_size, 144
	.set _ZL18flash_attn_ext_vecILi256ELi2EL9ggml_type1ELS0_1ELb1EEvPKcS2_S2_S2_S2_PKiPfP15HIP_vector_typeIfLj2EEffffjfiS6_IjLj3EEiiiiiiiiiiiliiliiiiil.uses_vcc, 1
	.set _ZL18flash_attn_ext_vecILi256ELi2EL9ggml_type1ELS0_1ELb1EEvPKcS2_S2_S2_S2_PKiPfP15HIP_vector_typeIfLj2EEffffjfiS6_IjLj3EEiiiiiiiiiiiliiliiiiil.uses_flat_scratch, 1
	.set _ZL18flash_attn_ext_vecILi256ELi2EL9ggml_type1ELS0_1ELb1EEvPKcS2_S2_S2_S2_PKiPfP15HIP_vector_typeIfLj2EEffffjfiS6_IjLj3EEiiiiiiiiiiiliiliiiiil.has_dyn_sized_stack, 0
	.set _ZL18flash_attn_ext_vecILi256ELi2EL9ggml_type1ELS0_1ELb1EEvPKcS2_S2_S2_S2_PKiPfP15HIP_vector_typeIfLj2EEffffjfiS6_IjLj3EEiiiiiiiiiiiliiliiiiil.has_recursion, 0
	.set _ZL18flash_attn_ext_vecILi256ELi2EL9ggml_type1ELS0_1ELb1EEvPKcS2_S2_S2_S2_PKiPfP15HIP_vector_typeIfLj2EEffffjfiS6_IjLj3EEiiiiiiiiiiiliiliiiiil.has_indirect_call, 0
	.section	.AMDGPU.csdata,"",@progbits
; Kernel info:
; codeLenInByte = 21648
; TotalNumSgprs: 54
; NumVgprs: 252
; ScratchSize: 144
; MemoryBound: 0
; FloatMode: 240
; IeeeMode: 1
; LDSByteSize: 8704 bytes/workgroup (compile time only)
; SGPRBlocks: 0
; VGPRBlocks: 15
; NumSGPRsForWavesPerEU: 54
; NumVGPRsForWavesPerEU: 252
; NamedBarCnt: 0
; Occupancy: 4
; WaveLimiterHint : 1
; COMPUTE_PGM_RSRC2:SCRATCH_EN: 1
; COMPUTE_PGM_RSRC2:USER_SGPR: 2
; COMPUTE_PGM_RSRC2:TRAP_HANDLER: 0
; COMPUTE_PGM_RSRC2:TGID_X_EN: 1
; COMPUTE_PGM_RSRC2:TGID_Y_EN: 1
; COMPUTE_PGM_RSRC2:TGID_Z_EN: 1
; COMPUTE_PGM_RSRC2:TIDIG_COMP_CNT: 1
	.text
	.p2alignl 7, 3214868480
	.fill 96, 4, 3214868480
	.section	.AMDGPU.gpr_maximums,"",@progbits
	.set amdgpu.max_num_vgpr, 50
	.set amdgpu.max_num_agpr, 0
	.set amdgpu.max_num_sgpr, 34
	.text
	.type	.str.3,@object                  ; @.str.3
	.section	.rodata.str1.1,"aMS",@progbits,1
.str.3:
	.asciz	"/root/src/amdgpu-assembly/repos/ggml-org__llama.cpp/ggml/src/ggml-cuda/template-instances/../fattn-vec.cuh"
	.size	.str.3, 107

	.type	__FUNCTION__._ZL18flash_attn_ext_vecILi64ELi1EL9ggml_type1ELS0_1ELb1EEvPKcS2_S2_S2_S2_PKiPfP15HIP_vector_typeIfLj2EEffffjfiS6_IjLj3EEiiiiiiiiiiiliiliiiiil,@object ; @__FUNCTION__._ZL18flash_attn_ext_vecILi64ELi1EL9ggml_type1ELS0_1ELb1EEvPKcS2_S2_S2_S2_PKiPfP15HIP_vector_typeIfLj2EEffffjfiS6_IjLj3EEiiiiiiiiiiiliiliiiiil
__FUNCTION__._ZL18flash_attn_ext_vecILi64ELi1EL9ggml_type1ELS0_1ELb1EEvPKcS2_S2_S2_S2_PKiPfP15HIP_vector_typeIfLj2EEffffjfiS6_IjLj3EEiiiiiiiiiiiliiliiiiil:
	.asciz	"flash_attn_ext_vec"
	.size	__FUNCTION__._ZL18flash_attn_ext_vecILi64ELi1EL9ggml_type1ELS0_1ELb1EEvPKcS2_S2_S2_S2_PKiPfP15HIP_vector_typeIfLj2EEffffjfiS6_IjLj3EEiiiiiiiiiiiliiliiiiil, 19

	.type	.str.5,@object                  ; @.str.5
.str.5:
	.asciz	"%s:%d: ERROR: HIP kernel %s has no device code compatible with HIP arch %d.\n"
	.size	.str.5, 77

	.type	__hip_cuid_d364c3d5ad075ee0,@object ; @__hip_cuid_d364c3d5ad075ee0
	.section	.bss,"aw",@nobits
	.globl	__hip_cuid_d364c3d5ad075ee0
__hip_cuid_d364c3d5ad075ee0:
	.byte	0                               ; 0x0
	.size	__hip_cuid_d364c3d5ad075ee0, 1

	.ident	"AMD clang version 22.0.0git (https://github.com/RadeonOpenCompute/llvm-project roc-7.2.4 26084 f58b06dce1f9c15707c5f808fd002e18c2accf7e)"
	.section	".note.GNU-stack","",@progbits
	.addrsig
	.addrsig_sym __hip_cuid_d364c3d5ad075ee0
	.amdgpu_metadata
---
amdhsa.kernels:
  - .args:
      - .address_space:  global
        .offset:         0
        .size:           8
        .value_kind:     global_buffer
      - .address_space:  global
        .offset:         8
        .size:           8
        .value_kind:     global_buffer
      - .address_space:  global
        .offset:         16
        .size:           8
        .value_kind:     global_buffer
      - .address_space:  global
        .offset:         24
        .size:           8
        .value_kind:     global_buffer
      - .address_space:  global
        .offset:         32
        .size:           8
        .value_kind:     global_buffer
      - .address_space:  global
        .offset:         40
        .size:           8
        .value_kind:     global_buffer
      - .address_space:  global
        .offset:         48
        .size:           8
        .value_kind:     global_buffer
      - .address_space:  global
        .offset:         56
        .size:           8
        .value_kind:     global_buffer
      - .offset:         64
        .size:           4
        .value_kind:     by_value
      - .offset:         68
        .size:           4
        .value_kind:     by_value
      - .offset:         72
        .size:           4
        .value_kind:     by_value
      - .offset:         76
        .size:           4
        .value_kind:     by_value
      - .offset:         80
        .size:           4
        .value_kind:     by_value
      - .offset:         84
        .size:           4
        .value_kind:     by_value
      - .offset:         88
        .size:           4
        .value_kind:     by_value
      - .offset:         92
        .size:           12
        .value_kind:     by_value
      - .offset:         104
        .size:           4
        .value_kind:     by_value
      - .offset:         108
        .size:           4
        .value_kind:     by_value
      - .offset:         112
        .size:           4
        .value_kind:     by_value
      - .offset:         116
        .size:           4
        .value_kind:     by_value
      - .offset:         120
        .size:           4
        .value_kind:     by_value
      - .offset:         124
        .size:           4
        .value_kind:     by_value
      - .offset:         128
        .size:           4
        .value_kind:     by_value
      - .offset:         132
        .size:           4
        .value_kind:     by_value
      - .offset:         136
        .size:           4
        .value_kind:     by_value
      - .offset:         140
        .size:           4
        .value_kind:     by_value
      - .offset:         144
        .size:           4
        .value_kind:     by_value
      - .offset:         152
        .size:           8
        .value_kind:     by_value
      - .offset:         160
        .size:           4
        .value_kind:     by_value
      - .offset:         164
        .size:           4
        .value_kind:     by_value
      - .offset:         168
        .size:           8
        .value_kind:     by_value
      - .offset:         176
        .size:           4
        .value_kind:     by_value
      - .offset:         180
        .size:           4
        .value_kind:     by_value
      - .offset:         184
        .size:           4
        .value_kind:     by_value
      - .offset:         188
        .size:           4
        .value_kind:     by_value
      - .offset:         192
        .size:           4
        .value_kind:     by_value
      - .offset:         200
        .size:           8
        .value_kind:     by_value
      - .offset:         208
        .size:           4
        .value_kind:     hidden_block_count_x
      - .offset:         212
        .size:           4
        .value_kind:     hidden_block_count_y
      - .offset:         216
        .size:           4
        .value_kind:     hidden_block_count_z
      - .offset:         220
        .size:           2
        .value_kind:     hidden_group_size_x
      - .offset:         222
        .size:           2
        .value_kind:     hidden_group_size_y
      - .offset:         224
        .size:           2
        .value_kind:     hidden_group_size_z
      - .offset:         226
        .size:           2
        .value_kind:     hidden_remainder_x
      - .offset:         228
        .size:           2
        .value_kind:     hidden_remainder_y
      - .offset:         230
        .size:           2
        .value_kind:     hidden_remainder_z
      - .offset:         248
        .size:           8
        .value_kind:     hidden_global_offset_x
      - .offset:         256
        .size:           8
        .value_kind:     hidden_global_offset_y
      - .offset:         264
        .size:           8
        .value_kind:     hidden_global_offset_z
      - .offset:         272
        .size:           2
        .value_kind:     hidden_grid_dims
    .group_segment_fixed_size: 2304
    .kernarg_segment_align: 8
    .kernarg_segment_size: 464
    .language:       OpenCL C
    .language_version:
      - 2
      - 0
    .max_flat_workgroup_size: 128
    .name:           _ZL18flash_attn_ext_vecILi64ELi1EL9ggml_type1ELS0_1ELb0EEvPKcS2_S2_S2_S2_PKiPfP15HIP_vector_typeIfLj2EEffffjfiS6_IjLj3EEiiiiiiiiiiiliiliiiiil
    .private_segment_fixed_size: 0
    .sgpr_count:     46
    .sgpr_spill_count: 0
    .symbol:         _ZL18flash_attn_ext_vecILi64ELi1EL9ggml_type1ELS0_1ELb0EEvPKcS2_S2_S2_S2_PKiPfP15HIP_vector_typeIfLj2EEffffjfiS6_IjLj3EEiiiiiiiiiiiliiliiiiil.kd
    .uniform_work_group_size: 1
    .uses_dynamic_stack: false
    .vgpr_count:     104
    .vgpr_spill_count: 0
    .wavefront_size: 32
  - .args:
      - .actual_access:  read_only
        .address_space:  global
        .offset:         0
        .size:           8
        .value_kind:     global_buffer
      - .actual_access:  write_only
        .address_space:  global
        .offset:         8
        .size:           8
        .value_kind:     global_buffer
      - .offset:         16
        .size:           4
        .value_kind:     by_value
      - .offset:         20
        .size:           4
        .value_kind:     by_value
      - .offset:         24
        .size:           4
        .value_kind:     by_value
      - .offset:         32
        .size:           4
        .value_kind:     hidden_block_count_x
      - .offset:         36
        .size:           4
        .value_kind:     hidden_block_count_y
      - .offset:         40
        .size:           4
        .value_kind:     hidden_block_count_z
      - .offset:         44
        .size:           2
        .value_kind:     hidden_group_size_x
      - .offset:         46
        .size:           2
        .value_kind:     hidden_group_size_y
      - .offset:         48
        .size:           2
        .value_kind:     hidden_group_size_z
      - .offset:         50
        .size:           2
        .value_kind:     hidden_remainder_x
      - .offset:         52
        .size:           2
        .value_kind:     hidden_remainder_y
      - .offset:         54
        .size:           2
        .value_kind:     hidden_remainder_z
      - .offset:         72
        .size:           8
        .value_kind:     hidden_global_offset_x
      - .offset:         80
        .size:           8
        .value_kind:     hidden_global_offset_y
      - .offset:         88
        .size:           8
        .value_kind:     hidden_global_offset_z
      - .offset:         96
        .size:           2
        .value_kind:     hidden_grid_dims
    .group_segment_fixed_size: 128
    .kernarg_segment_align: 8
    .kernarg_segment_size: 288
    .language:       OpenCL C
    .language_version:
      - 2
      - 0
    .max_flat_workgroup_size: 128
    .name:           _ZL25flash_attn_mask_to_KV_maxILi1EEvPK7__half2Piiii
    .private_segment_fixed_size: 0
    .sgpr_count:     15
    .sgpr_spill_count: 0
    .symbol:         _ZL25flash_attn_mask_to_KV_maxILi1EEvPK7__half2Piiii.kd
    .uniform_work_group_size: 1
    .uses_dynamic_stack: false
    .vgpr_count:     5
    .vgpr_spill_count: 0
    .wavefront_size: 32
  - .args:
      - .address_space:  global
        .offset:         0
        .size:           8
        .value_kind:     global_buffer
      - .address_space:  global
        .offset:         8
        .size:           8
        .value_kind:     global_buffer
      - .offset:         16
        .size:           4
        .value_kind:     by_value
      - .offset:         20
        .size:           4
        .value_kind:     by_value
      - .offset:         24
        .size:           4
        .value_kind:     by_value
      - .offset:         28
        .size:           4
        .value_kind:     by_value
      - .offset:         32
        .size:           4
        .value_kind:     by_value
      - .offset:         36
        .size:           4
        .value_kind:     by_value
      - .offset:         40
        .size:           12
        .value_kind:     by_value
      - .offset:         52
        .size:           12
        .value_kind:     by_value
      - .offset:         64
        .size:           12
        .value_kind:     by_value
    .group_segment_fixed_size: 0
    .kernarg_segment_align: 8
    .kernarg_segment_size: 76
    .language:       OpenCL C
    .language_version:
      - 2
      - 0
    .max_flat_workgroup_size: 64
    .name:           _ZL33flash_attn_stream_k_fixup_uniformILi64ELi1ELi1EEvPfPK15HIP_vector_typeIfLj2EEiiiiiiS1_IjLj3EES5_S5_
    .private_segment_fixed_size: 0
    .sgpr_count:     23
    .sgpr_spill_count: 0
    .symbol:         _ZL33flash_attn_stream_k_fixup_uniformILi64ELi1ELi1EEvPfPK15HIP_vector_typeIfLj2EEiiiiiiS1_IjLj3EES5_S5_.kd
    .uniform_work_group_size: 1
    .uses_dynamic_stack: false
    .vgpr_count:     12
    .vgpr_spill_count: 0
    .wavefront_size: 32
  - .args:
      - .address_space:  global
        .offset:         0
        .size:           8
        .value_kind:     global_buffer
      - .address_space:  global
        .offset:         8
        .size:           8
        .value_kind:     global_buffer
      - .offset:         16
        .size:           4
        .value_kind:     by_value
      - .offset:         20
        .size:           4
        .value_kind:     by_value
      - .offset:         24
        .size:           4
        .value_kind:     by_value
      - .offset:         28
        .size:           4
        .value_kind:     by_value
      - .offset:         32
        .size:           12
        .value_kind:     by_value
      - .offset:         44
        .size:           12
        .value_kind:     by_value
      - .offset:         56
        .size:           12
        .value_kind:     by_value
      - .offset:         68
        .size:           12
        .value_kind:     by_value
      - .offset:         80
        .size:           4
        .value_kind:     hidden_block_count_x
      - .offset:         84
        .size:           4
        .value_kind:     hidden_block_count_y
      - .offset:         88
        .size:           4
        .value_kind:     hidden_block_count_z
      - .offset:         92
        .size:           2
        .value_kind:     hidden_group_size_x
      - .offset:         94
        .size:           2
        .value_kind:     hidden_group_size_y
      - .offset:         96
        .size:           2
        .value_kind:     hidden_group_size_z
      - .offset:         98
        .size:           2
        .value_kind:     hidden_remainder_x
      - .offset:         100
        .size:           2
        .value_kind:     hidden_remainder_y
      - .offset:         102
        .size:           2
        .value_kind:     hidden_remainder_z
      - .offset:         120
        .size:           8
        .value_kind:     hidden_global_offset_x
      - .offset:         128
        .size:           8
        .value_kind:     hidden_global_offset_y
      - .offset:         136
        .size:           8
        .value_kind:     hidden_global_offset_z
      - .offset:         144
        .size:           2
        .value_kind:     hidden_grid_dims
    .group_segment_fixed_size: 0
    .kernarg_segment_align: 8
    .kernarg_segment_size: 336
    .language:       OpenCL C
    .language_version:
      - 2
      - 0
    .max_flat_workgroup_size: 64
    .name:           _ZL33flash_attn_stream_k_fixup_generalILi64ELi1ELi1EEvPfPK15HIP_vector_typeIfLj2EEiiiiS1_IjLj3EES5_S5_S5_
    .private_segment_fixed_size: 0
    .sgpr_count:     48
    .sgpr_spill_count: 0
    .symbol:         _ZL33flash_attn_stream_k_fixup_generalILi64ELi1ELi1EEvPfPK15HIP_vector_typeIfLj2EEiiiiS1_IjLj3EES5_S5_S5_.kd
    .uniform_work_group_size: 1
    .uses_dynamic_stack: false
    .vgpr_count:     12
    .vgpr_spill_count: 0
    .wavefront_size: 32
  - .args:
      - .address_space:  global
        .offset:         0
        .size:           8
        .value_kind:     global_buffer
      - .address_space:  global
        .offset:         8
        .size:           8
        .value_kind:     global_buffer
      - .address_space:  global
        .offset:         16
        .size:           8
        .value_kind:     global_buffer
      - .offset:         24
        .size:           4
        .value_kind:     by_value
      - .offset:         32
        .size:           4
        .value_kind:     hidden_block_count_x
      - .offset:         36
        .size:           4
        .value_kind:     hidden_block_count_y
      - .offset:         40
        .size:           4
        .value_kind:     hidden_block_count_z
      - .offset:         44
        .size:           2
        .value_kind:     hidden_group_size_x
      - .offset:         46
        .size:           2
        .value_kind:     hidden_group_size_y
      - .offset:         48
        .size:           2
        .value_kind:     hidden_group_size_z
      - .offset:         50
        .size:           2
        .value_kind:     hidden_remainder_x
      - .offset:         52
        .size:           2
        .value_kind:     hidden_remainder_y
      - .offset:         54
        .size:           2
        .value_kind:     hidden_remainder_z
      - .offset:         72
        .size:           8
        .value_kind:     hidden_global_offset_x
      - .offset:         80
        .size:           8
        .value_kind:     hidden_global_offset_y
      - .offset:         88
        .size:           8
        .value_kind:     hidden_global_offset_z
      - .offset:         96
        .size:           2
        .value_kind:     hidden_grid_dims
      - .offset:         152
        .size:           4
        .value_kind:     hidden_dynamic_lds_size
    .group_segment_fixed_size: 0
    .kernarg_segment_align: 8
    .kernarg_segment_size: 288
    .language:       OpenCL C
    .language_version:
      - 2
      - 0
    .max_flat_workgroup_size: 64
    .name:           _ZL26flash_attn_combine_resultsILi64EEvPKfPK15HIP_vector_typeIfLj2EEPfi
    .private_segment_fixed_size: 0
    .sgpr_count:     45
    .sgpr_spill_count: 0
    .symbol:         _ZL26flash_attn_combine_resultsILi64EEvPKfPK15HIP_vector_typeIfLj2EEPfi.kd
    .uniform_work_group_size: 1
    .uses_dynamic_stack: false
    .vgpr_count:     36
    .vgpr_spill_count: 0
    .wavefront_size: 32
  - .args:
      - .address_space:  global
        .offset:         0
        .size:           8
        .value_kind:     global_buffer
      - .address_space:  global
        .offset:         8
        .size:           8
        .value_kind:     global_buffer
      - .address_space:  global
        .offset:         16
        .size:           8
        .value_kind:     global_buffer
      - .address_space:  global
        .offset:         24
        .size:           8
        .value_kind:     global_buffer
      - .address_space:  global
        .offset:         32
        .size:           8
        .value_kind:     global_buffer
      - .address_space:  global
        .offset:         40
        .size:           8
        .value_kind:     global_buffer
      - .address_space:  global
        .offset:         48
        .size:           8
        .value_kind:     global_buffer
      - .address_space:  global
        .offset:         56
        .size:           8
        .value_kind:     global_buffer
      - .offset:         64
        .size:           4
        .value_kind:     by_value
      - .offset:         68
        .size:           4
        .value_kind:     by_value
      - .offset:         72
        .size:           4
        .value_kind:     by_value
      - .offset:         76
        .size:           4
        .value_kind:     by_value
      - .offset:         80
        .size:           4
        .value_kind:     by_value
      - .offset:         84
        .size:           4
        .value_kind:     by_value
      - .offset:         88
        .size:           4
        .value_kind:     by_value
      - .offset:         92
        .size:           12
        .value_kind:     by_value
      - .offset:         104
        .size:           4
        .value_kind:     by_value
      - .offset:         108
        .size:           4
        .value_kind:     by_value
      - .offset:         112
        .size:           4
        .value_kind:     by_value
      - .offset:         116
        .size:           4
        .value_kind:     by_value
      - .offset:         120
        .size:           4
        .value_kind:     by_value
      - .offset:         124
        .size:           4
        .value_kind:     by_value
      - .offset:         128
        .size:           4
        .value_kind:     by_value
      - .offset:         132
        .size:           4
        .value_kind:     by_value
      - .offset:         136
        .size:           4
        .value_kind:     by_value
      - .offset:         140
        .size:           4
        .value_kind:     by_value
      - .offset:         144
        .size:           4
        .value_kind:     by_value
      - .offset:         152
        .size:           8
        .value_kind:     by_value
      - .offset:         160
        .size:           4
        .value_kind:     by_value
      - .offset:         164
        .size:           4
        .value_kind:     by_value
      - .offset:         168
        .size:           8
        .value_kind:     by_value
      - .offset:         176
        .size:           4
        .value_kind:     by_value
      - .offset:         180
        .size:           4
        .value_kind:     by_value
      - .offset:         184
        .size:           4
        .value_kind:     by_value
      - .offset:         188
        .size:           4
        .value_kind:     by_value
      - .offset:         192
        .size:           4
        .value_kind:     by_value
      - .offset:         200
        .size:           8
        .value_kind:     by_value
      - .offset:         208
        .size:           4
        .value_kind:     hidden_block_count_x
      - .offset:         212
        .size:           4
        .value_kind:     hidden_block_count_y
      - .offset:         216
        .size:           4
        .value_kind:     hidden_block_count_z
      - .offset:         220
        .size:           2
        .value_kind:     hidden_group_size_x
      - .offset:         222
        .size:           2
        .value_kind:     hidden_group_size_y
      - .offset:         224
        .size:           2
        .value_kind:     hidden_group_size_z
      - .offset:         226
        .size:           2
        .value_kind:     hidden_remainder_x
      - .offset:         228
        .size:           2
        .value_kind:     hidden_remainder_y
      - .offset:         230
        .size:           2
        .value_kind:     hidden_remainder_z
      - .offset:         248
        .size:           8
        .value_kind:     hidden_global_offset_x
      - .offset:         256
        .size:           8
        .value_kind:     hidden_global_offset_y
      - .offset:         264
        .size:           8
        .value_kind:     hidden_global_offset_z
      - .offset:         272
        .size:           2
        .value_kind:     hidden_grid_dims
      - .offset:         288
        .size:           8
        .value_kind:     hidden_hostcall_buffer
    .group_segment_fixed_size: 0
    .kernarg_segment_align: 8
    .kernarg_segment_size: 464
    .language:       OpenCL C
    .language_version:
      - 2
      - 0
    .max_flat_workgroup_size: 128
    .name:           _ZL18flash_attn_ext_vecILi64ELi1EL9ggml_type1ELS0_1ELb1EEvPKcS2_S2_S2_S2_PKiPfP15HIP_vector_typeIfLj2EEffffjfiS6_IjLj3EEiiiiiiiiiiiliiliiiiil
    .private_segment_fixed_size: 16
    .sgpr_count:     36
    .sgpr_spill_count: 0
    .symbol:         _ZL18flash_attn_ext_vecILi64ELi1EL9ggml_type1ELS0_1ELb1EEvPKcS2_S2_S2_S2_PKiPfP15HIP_vector_typeIfLj2EEffffjfiS6_IjLj3EEiiiiiiiiiiiliiliiiiil.kd
    .uniform_work_group_size: 1
    .uses_dynamic_stack: false
    .vgpr_count:     50
    .vgpr_spill_count: 0
    .wavefront_size: 32
  - .args:
      - .address_space:  global
        .offset:         0
        .size:           8
        .value_kind:     global_buffer
      - .address_space:  global
        .offset:         8
        .size:           8
        .value_kind:     global_buffer
      - .address_space:  global
        .offset:         16
        .size:           8
        .value_kind:     global_buffer
      - .address_space:  global
        .offset:         24
        .size:           8
        .value_kind:     global_buffer
      - .address_space:  global
        .offset:         32
        .size:           8
        .value_kind:     global_buffer
      - .address_space:  global
        .offset:         40
        .size:           8
        .value_kind:     global_buffer
      - .address_space:  global
        .offset:         48
        .size:           8
        .value_kind:     global_buffer
      - .address_space:  global
        .offset:         56
        .size:           8
        .value_kind:     global_buffer
      - .offset:         64
        .size:           4
        .value_kind:     by_value
      - .offset:         68
        .size:           4
        .value_kind:     by_value
      - .offset:         72
        .size:           4
        .value_kind:     by_value
      - .offset:         76
        .size:           4
        .value_kind:     by_value
      - .offset:         80
        .size:           4
        .value_kind:     by_value
      - .offset:         84
        .size:           4
        .value_kind:     by_value
      - .offset:         88
        .size:           4
        .value_kind:     by_value
      - .offset:         92
        .size:           12
        .value_kind:     by_value
      - .offset:         104
        .size:           4
        .value_kind:     by_value
      - .offset:         108
        .size:           4
        .value_kind:     by_value
      - .offset:         112
        .size:           4
        .value_kind:     by_value
      - .offset:         116
        .size:           4
        .value_kind:     by_value
      - .offset:         120
        .size:           4
        .value_kind:     by_value
      - .offset:         124
        .size:           4
        .value_kind:     by_value
      - .offset:         128
        .size:           4
        .value_kind:     by_value
      - .offset:         132
        .size:           4
        .value_kind:     by_value
      - .offset:         136
        .size:           4
        .value_kind:     by_value
      - .offset:         140
        .size:           4
        .value_kind:     by_value
      - .offset:         144
        .size:           4
        .value_kind:     by_value
      - .offset:         152
        .size:           8
        .value_kind:     by_value
      - .offset:         160
        .size:           4
        .value_kind:     by_value
      - .offset:         164
        .size:           4
        .value_kind:     by_value
      - .offset:         168
        .size:           8
        .value_kind:     by_value
      - .offset:         176
        .size:           4
        .value_kind:     by_value
      - .offset:         180
        .size:           4
        .value_kind:     by_value
      - .offset:         184
        .size:           4
        .value_kind:     by_value
      - .offset:         188
        .size:           4
        .value_kind:     by_value
      - .offset:         192
        .size:           4
        .value_kind:     by_value
      - .offset:         200
        .size:           8
        .value_kind:     by_value
      - .offset:         208
        .size:           4
        .value_kind:     hidden_block_count_x
      - .offset:         212
        .size:           4
        .value_kind:     hidden_block_count_y
      - .offset:         216
        .size:           4
        .value_kind:     hidden_block_count_z
      - .offset:         220
        .size:           2
        .value_kind:     hidden_group_size_x
      - .offset:         222
        .size:           2
        .value_kind:     hidden_group_size_y
      - .offset:         224
        .size:           2
        .value_kind:     hidden_group_size_z
      - .offset:         226
        .size:           2
        .value_kind:     hidden_remainder_x
      - .offset:         228
        .size:           2
        .value_kind:     hidden_remainder_y
      - .offset:         230
        .size:           2
        .value_kind:     hidden_remainder_z
      - .offset:         248
        .size:           8
        .value_kind:     hidden_global_offset_x
      - .offset:         256
        .size:           8
        .value_kind:     hidden_global_offset_y
      - .offset:         264
        .size:           8
        .value_kind:     hidden_global_offset_z
      - .offset:         272
        .size:           2
        .value_kind:     hidden_grid_dims
    .group_segment_fixed_size: 6656
    .kernarg_segment_align: 8
    .kernarg_segment_size: 464
    .language:       OpenCL C
    .language_version:
      - 2
      - 0
    .max_flat_workgroup_size: 128
    .name:           _ZL18flash_attn_ext_vecILi64ELi2EL9ggml_type1ELS0_1ELb0EEvPKcS2_S2_S2_S2_PKiPfP15HIP_vector_typeIfLj2EEffffjfiS6_IjLj3EEiiiiiiiiiiiliiliiiiil
    .private_segment_fixed_size: 0
    .sgpr_count:     56
    .sgpr_spill_count: 0
    .symbol:         _ZL18flash_attn_ext_vecILi64ELi2EL9ggml_type1ELS0_1ELb0EEvPKcS2_S2_S2_S2_PKiPfP15HIP_vector_typeIfLj2EEffffjfiS6_IjLj3EEiiiiiiiiiiiliiliiiiil.kd
    .uniform_work_group_size: 1
    .uses_dynamic_stack: false
    .vgpr_count:     132
    .vgpr_spill_count: 0
    .wavefront_size: 32
  - .args:
      - .actual_access:  read_only
        .address_space:  global
        .offset:         0
        .size:           8
        .value_kind:     global_buffer
      - .actual_access:  write_only
        .address_space:  global
        .offset:         8
        .size:           8
        .value_kind:     global_buffer
      - .offset:         16
        .size:           4
        .value_kind:     by_value
      - .offset:         20
        .size:           4
        .value_kind:     by_value
      - .offset:         24
        .size:           4
        .value_kind:     by_value
      - .offset:         32
        .size:           4
        .value_kind:     hidden_block_count_x
      - .offset:         36
        .size:           4
        .value_kind:     hidden_block_count_y
      - .offset:         40
        .size:           4
        .value_kind:     hidden_block_count_z
      - .offset:         44
        .size:           2
        .value_kind:     hidden_group_size_x
      - .offset:         46
        .size:           2
        .value_kind:     hidden_group_size_y
      - .offset:         48
        .size:           2
        .value_kind:     hidden_group_size_z
      - .offset:         50
        .size:           2
        .value_kind:     hidden_remainder_x
      - .offset:         52
        .size:           2
        .value_kind:     hidden_remainder_y
      - .offset:         54
        .size:           2
        .value_kind:     hidden_remainder_z
      - .offset:         72
        .size:           8
        .value_kind:     hidden_global_offset_x
      - .offset:         80
        .size:           8
        .value_kind:     hidden_global_offset_y
      - .offset:         88
        .size:           8
        .value_kind:     hidden_global_offset_z
      - .offset:         96
        .size:           2
        .value_kind:     hidden_grid_dims
    .group_segment_fixed_size: 128
    .kernarg_segment_align: 8
    .kernarg_segment_size: 288
    .language:       OpenCL C
    .language_version:
      - 2
      - 0
    .max_flat_workgroup_size: 128
    .name:           _ZL25flash_attn_mask_to_KV_maxILi2EEvPK7__half2Piiii
    .private_segment_fixed_size: 0
    .sgpr_count:     17
    .sgpr_spill_count: 0
    .symbol:         _ZL25flash_attn_mask_to_KV_maxILi2EEvPK7__half2Piiii.kd
    .uniform_work_group_size: 1
    .uses_dynamic_stack: false
    .vgpr_count:     6
    .vgpr_spill_count: 0
    .wavefront_size: 32
  - .args:
      - .address_space:  global
        .offset:         0
        .size:           8
        .value_kind:     global_buffer
      - .address_space:  global
        .offset:         8
        .size:           8
        .value_kind:     global_buffer
      - .offset:         16
        .size:           4
        .value_kind:     by_value
      - .offset:         20
        .size:           4
        .value_kind:     by_value
      - .offset:         24
        .size:           4
        .value_kind:     by_value
      - .offset:         28
        .size:           4
        .value_kind:     by_value
      - .offset:         32
        .size:           4
        .value_kind:     by_value
      - .offset:         36
        .size:           4
        .value_kind:     by_value
      - .offset:         40
        .size:           12
        .value_kind:     by_value
      - .offset:         52
        .size:           12
        .value_kind:     by_value
      - .offset:         64
        .size:           12
        .value_kind:     by_value
    .group_segment_fixed_size: 0
    .kernarg_segment_align: 8
    .kernarg_segment_size: 76
    .language:       OpenCL C
    .language_version:
      - 2
      - 0
    .max_flat_workgroup_size: 64
    .name:           _ZL33flash_attn_stream_k_fixup_uniformILi64ELi2ELi1EEvPfPK15HIP_vector_typeIfLj2EEiiiiiiS1_IjLj3EES5_S5_
    .private_segment_fixed_size: 0
    .sgpr_count:     23
    .sgpr_spill_count: 0
    .symbol:         _ZL33flash_attn_stream_k_fixup_uniformILi64ELi2ELi1EEvPfPK15HIP_vector_typeIfLj2EEiiiiiiS1_IjLj3EES5_S5_.kd
    .uniform_work_group_size: 1
    .uses_dynamic_stack: false
    .vgpr_count:     12
    .vgpr_spill_count: 0
    .wavefront_size: 32
  - .args:
      - .address_space:  global
        .offset:         0
        .size:           8
        .value_kind:     global_buffer
      - .address_space:  global
        .offset:         8
        .size:           8
        .value_kind:     global_buffer
      - .offset:         16
        .size:           4
        .value_kind:     by_value
      - .offset:         20
        .size:           4
        .value_kind:     by_value
      - .offset:         24
        .size:           4
        .value_kind:     by_value
      - .offset:         28
        .size:           4
        .value_kind:     by_value
      - .offset:         32
        .size:           12
        .value_kind:     by_value
      - .offset:         44
        .size:           12
        .value_kind:     by_value
      - .offset:         56
        .size:           12
        .value_kind:     by_value
      - .offset:         68
        .size:           12
        .value_kind:     by_value
      - .offset:         80
        .size:           4
        .value_kind:     hidden_block_count_x
      - .offset:         84
        .size:           4
        .value_kind:     hidden_block_count_y
      - .offset:         88
        .size:           4
        .value_kind:     hidden_block_count_z
      - .offset:         92
        .size:           2
        .value_kind:     hidden_group_size_x
      - .offset:         94
        .size:           2
        .value_kind:     hidden_group_size_y
      - .offset:         96
        .size:           2
        .value_kind:     hidden_group_size_z
      - .offset:         98
        .size:           2
        .value_kind:     hidden_remainder_x
      - .offset:         100
        .size:           2
        .value_kind:     hidden_remainder_y
      - .offset:         102
        .size:           2
        .value_kind:     hidden_remainder_z
      - .offset:         120
        .size:           8
        .value_kind:     hidden_global_offset_x
      - .offset:         128
        .size:           8
        .value_kind:     hidden_global_offset_y
      - .offset:         136
        .size:           8
        .value_kind:     hidden_global_offset_z
      - .offset:         144
        .size:           2
        .value_kind:     hidden_grid_dims
    .group_segment_fixed_size: 0
    .kernarg_segment_align: 8
    .kernarg_segment_size: 336
    .language:       OpenCL C
    .language_version:
      - 2
      - 0
    .max_flat_workgroup_size: 64
    .name:           _ZL33flash_attn_stream_k_fixup_generalILi64ELi2ELi1EEvPfPK15HIP_vector_typeIfLj2EEiiiiS1_IjLj3EES5_S5_S5_
    .private_segment_fixed_size: 0
    .sgpr_count:     48
    .sgpr_spill_count: 0
    .symbol:         _ZL33flash_attn_stream_k_fixup_generalILi64ELi2ELi1EEvPfPK15HIP_vector_typeIfLj2EEiiiiS1_IjLj3EES5_S5_S5_.kd
    .uniform_work_group_size: 1
    .uses_dynamic_stack: false
    .vgpr_count:     12
    .vgpr_spill_count: 0
    .wavefront_size: 32
  - .args:
      - .address_space:  global
        .offset:         0
        .size:           8
        .value_kind:     global_buffer
      - .address_space:  global
        .offset:         8
        .size:           8
        .value_kind:     global_buffer
      - .address_space:  global
        .offset:         16
        .size:           8
        .value_kind:     global_buffer
      - .address_space:  global
        .offset:         24
        .size:           8
        .value_kind:     global_buffer
      - .address_space:  global
        .offset:         32
        .size:           8
        .value_kind:     global_buffer
      - .address_space:  global
        .offset:         40
        .size:           8
        .value_kind:     global_buffer
      - .address_space:  global
        .offset:         48
        .size:           8
        .value_kind:     global_buffer
      - .address_space:  global
        .offset:         56
        .size:           8
        .value_kind:     global_buffer
      - .offset:         64
        .size:           4
        .value_kind:     by_value
      - .offset:         68
        .size:           4
        .value_kind:     by_value
      - .offset:         72
        .size:           4
        .value_kind:     by_value
      - .offset:         76
        .size:           4
        .value_kind:     by_value
      - .offset:         80
        .size:           4
        .value_kind:     by_value
      - .offset:         84
        .size:           4
        .value_kind:     by_value
      - .offset:         88
        .size:           4
        .value_kind:     by_value
      - .offset:         92
        .size:           12
        .value_kind:     by_value
      - .offset:         104
        .size:           4
        .value_kind:     by_value
      - .offset:         108
        .size:           4
        .value_kind:     by_value
      - .offset:         112
        .size:           4
        .value_kind:     by_value
      - .offset:         116
        .size:           4
        .value_kind:     by_value
      - .offset:         120
        .size:           4
        .value_kind:     by_value
      - .offset:         124
        .size:           4
        .value_kind:     by_value
      - .offset:         128
        .size:           4
        .value_kind:     by_value
      - .offset:         132
        .size:           4
        .value_kind:     by_value
      - .offset:         136
        .size:           4
        .value_kind:     by_value
      - .offset:         140
        .size:           4
        .value_kind:     by_value
      - .offset:         144
        .size:           4
        .value_kind:     by_value
      - .offset:         152
        .size:           8
        .value_kind:     by_value
      - .offset:         160
        .size:           4
        .value_kind:     by_value
      - .offset:         164
        .size:           4
        .value_kind:     by_value
      - .offset:         168
        .size:           8
        .value_kind:     by_value
      - .offset:         176
        .size:           4
        .value_kind:     by_value
      - .offset:         180
        .size:           4
        .value_kind:     by_value
      - .offset:         184
        .size:           4
        .value_kind:     by_value
      - .offset:         188
        .size:           4
        .value_kind:     by_value
      - .offset:         192
        .size:           4
        .value_kind:     by_value
      - .offset:         200
        .size:           8
        .value_kind:     by_value
      - .offset:         208
        .size:           4
        .value_kind:     hidden_block_count_x
      - .offset:         212
        .size:           4
        .value_kind:     hidden_block_count_y
      - .offset:         216
        .size:           4
        .value_kind:     hidden_block_count_z
      - .offset:         220
        .size:           2
        .value_kind:     hidden_group_size_x
      - .offset:         222
        .size:           2
        .value_kind:     hidden_group_size_y
      - .offset:         224
        .size:           2
        .value_kind:     hidden_group_size_z
      - .offset:         226
        .size:           2
        .value_kind:     hidden_remainder_x
      - .offset:         228
        .size:           2
        .value_kind:     hidden_remainder_y
      - .offset:         230
        .size:           2
        .value_kind:     hidden_remainder_z
      - .offset:         248
        .size:           8
        .value_kind:     hidden_global_offset_x
      - .offset:         256
        .size:           8
        .value_kind:     hidden_global_offset_y
      - .offset:         264
        .size:           8
        .value_kind:     hidden_global_offset_z
      - .offset:         272
        .size:           2
        .value_kind:     hidden_grid_dims
      - .offset:         288
        .size:           8
        .value_kind:     hidden_hostcall_buffer
    .group_segment_fixed_size: 0
    .kernarg_segment_align: 8
    .kernarg_segment_size: 464
    .language:       OpenCL C
    .language_version:
      - 2
      - 0
    .max_flat_workgroup_size: 128
    .name:           _ZL18flash_attn_ext_vecILi64ELi2EL9ggml_type1ELS0_1ELb1EEvPKcS2_S2_S2_S2_PKiPfP15HIP_vector_typeIfLj2EEffffjfiS6_IjLj3EEiiiiiiiiiiiliiliiiiil
    .private_segment_fixed_size: 16
    .sgpr_count:     36
    .sgpr_spill_count: 0
    .symbol:         _ZL18flash_attn_ext_vecILi64ELi2EL9ggml_type1ELS0_1ELb1EEvPKcS2_S2_S2_S2_PKiPfP15HIP_vector_typeIfLj2EEffffjfiS6_IjLj3EEiiiiiiiiiiiliiliiiiil.kd
    .uniform_work_group_size: 1
    .uses_dynamic_stack: false
    .vgpr_count:     50
    .vgpr_spill_count: 0
    .wavefront_size: 32
  - .args:
      - .address_space:  global
        .offset:         0
        .size:           8
        .value_kind:     global_buffer
      - .address_space:  global
        .offset:         8
        .size:           8
        .value_kind:     global_buffer
      - .address_space:  global
        .offset:         16
        .size:           8
        .value_kind:     global_buffer
      - .address_space:  global
        .offset:         24
        .size:           8
        .value_kind:     global_buffer
      - .address_space:  global
        .offset:         32
        .size:           8
        .value_kind:     global_buffer
      - .address_space:  global
        .offset:         40
        .size:           8
        .value_kind:     global_buffer
      - .address_space:  global
        .offset:         48
        .size:           8
        .value_kind:     global_buffer
      - .address_space:  global
        .offset:         56
        .size:           8
        .value_kind:     global_buffer
      - .offset:         64
        .size:           4
        .value_kind:     by_value
      - .offset:         68
        .size:           4
        .value_kind:     by_value
      - .offset:         72
        .size:           4
        .value_kind:     by_value
      - .offset:         76
        .size:           4
        .value_kind:     by_value
      - .offset:         80
        .size:           4
        .value_kind:     by_value
      - .offset:         84
        .size:           4
        .value_kind:     by_value
      - .offset:         88
        .size:           4
        .value_kind:     by_value
      - .offset:         92
        .size:           12
        .value_kind:     by_value
      - .offset:         104
        .size:           4
        .value_kind:     by_value
      - .offset:         108
        .size:           4
        .value_kind:     by_value
      - .offset:         112
        .size:           4
        .value_kind:     by_value
      - .offset:         116
        .size:           4
        .value_kind:     by_value
      - .offset:         120
        .size:           4
        .value_kind:     by_value
      - .offset:         124
        .size:           4
        .value_kind:     by_value
      - .offset:         128
        .size:           4
        .value_kind:     by_value
      - .offset:         132
        .size:           4
        .value_kind:     by_value
      - .offset:         136
        .size:           4
        .value_kind:     by_value
      - .offset:         140
        .size:           4
        .value_kind:     by_value
      - .offset:         144
        .size:           4
        .value_kind:     by_value
      - .offset:         152
        .size:           8
        .value_kind:     by_value
      - .offset:         160
        .size:           4
        .value_kind:     by_value
      - .offset:         164
        .size:           4
        .value_kind:     by_value
      - .offset:         168
        .size:           8
        .value_kind:     by_value
      - .offset:         176
        .size:           4
        .value_kind:     by_value
      - .offset:         180
        .size:           4
        .value_kind:     by_value
      - .offset:         184
        .size:           4
        .value_kind:     by_value
      - .offset:         188
        .size:           4
        .value_kind:     by_value
      - .offset:         192
        .size:           4
        .value_kind:     by_value
      - .offset:         200
        .size:           8
        .value_kind:     by_value
      - .offset:         208
        .size:           4
        .value_kind:     hidden_block_count_x
      - .offset:         212
        .size:           4
        .value_kind:     hidden_block_count_y
      - .offset:         216
        .size:           4
        .value_kind:     hidden_block_count_z
      - .offset:         220
        .size:           2
        .value_kind:     hidden_group_size_x
      - .offset:         222
        .size:           2
        .value_kind:     hidden_group_size_y
      - .offset:         224
        .size:           2
        .value_kind:     hidden_group_size_z
      - .offset:         226
        .size:           2
        .value_kind:     hidden_remainder_x
      - .offset:         228
        .size:           2
        .value_kind:     hidden_remainder_y
      - .offset:         230
        .size:           2
        .value_kind:     hidden_remainder_z
      - .offset:         248
        .size:           8
        .value_kind:     hidden_global_offset_x
      - .offset:         256
        .size:           8
        .value_kind:     hidden_global_offset_y
      - .offset:         264
        .size:           8
        .value_kind:     hidden_global_offset_z
      - .offset:         272
        .size:           2
        .value_kind:     hidden_grid_dims
    .group_segment_fixed_size: 4352
    .kernarg_segment_align: 8
    .kernarg_segment_size: 464
    .language:       OpenCL C
    .language_version:
      - 2
      - 0
    .max_flat_workgroup_size: 128
    .name:           _ZL18flash_attn_ext_vecILi128ELi1EL9ggml_type1ELS0_1ELb0EEvPKcS2_S2_S2_S2_PKiPfP15HIP_vector_typeIfLj2EEffffjfiS6_IjLj3EEiiiiiiiiiiiliiliiiiil
    .private_segment_fixed_size: 0
    .sgpr_count:     46
    .sgpr_spill_count: 0
    .symbol:         _ZL18flash_attn_ext_vecILi128ELi1EL9ggml_type1ELS0_1ELb0EEvPKcS2_S2_S2_S2_PKiPfP15HIP_vector_typeIfLj2EEffffjfiS6_IjLj3EEiiiiiiiiiiiliiliiiiil.kd
    .uniform_work_group_size: 1
    .uses_dynamic_stack: false
    .vgpr_count:     142
    .vgpr_spill_count: 0
    .wavefront_size: 32
  - .args:
      - .address_space:  global
        .offset:         0
        .size:           8
        .value_kind:     global_buffer
      - .address_space:  global
        .offset:         8
        .size:           8
        .value_kind:     global_buffer
      - .offset:         16
        .size:           4
        .value_kind:     by_value
      - .offset:         20
        .size:           4
        .value_kind:     by_value
      - .offset:         24
        .size:           4
        .value_kind:     by_value
      - .offset:         28
        .size:           4
        .value_kind:     by_value
      - .offset:         32
        .size:           4
        .value_kind:     by_value
      - .offset:         36
        .size:           4
        .value_kind:     by_value
      - .offset:         40
        .size:           12
        .value_kind:     by_value
      - .offset:         52
        .size:           12
        .value_kind:     by_value
      - .offset:         64
        .size:           12
        .value_kind:     by_value
    .group_segment_fixed_size: 0
    .kernarg_segment_align: 8
    .kernarg_segment_size: 76
    .language:       OpenCL C
    .language_version:
      - 2
      - 0
    .max_flat_workgroup_size: 128
    .name:           _ZL33flash_attn_stream_k_fixup_uniformILi128ELi1ELi1EEvPfPK15HIP_vector_typeIfLj2EEiiiiiiS1_IjLj3EES5_S5_
    .private_segment_fixed_size: 0
    .sgpr_count:     23
    .sgpr_spill_count: 0
    .symbol:         _ZL33flash_attn_stream_k_fixup_uniformILi128ELi1ELi1EEvPfPK15HIP_vector_typeIfLj2EEiiiiiiS1_IjLj3EES5_S5_.kd
    .uniform_work_group_size: 1
    .uses_dynamic_stack: false
    .vgpr_count:     12
    .vgpr_spill_count: 0
    .wavefront_size: 32
  - .args:
      - .address_space:  global
        .offset:         0
        .size:           8
        .value_kind:     global_buffer
      - .address_space:  global
        .offset:         8
        .size:           8
        .value_kind:     global_buffer
      - .offset:         16
        .size:           4
        .value_kind:     by_value
      - .offset:         20
        .size:           4
        .value_kind:     by_value
      - .offset:         24
        .size:           4
        .value_kind:     by_value
      - .offset:         28
        .size:           4
        .value_kind:     by_value
      - .offset:         32
        .size:           12
        .value_kind:     by_value
      - .offset:         44
        .size:           12
        .value_kind:     by_value
      - .offset:         56
        .size:           12
        .value_kind:     by_value
      - .offset:         68
        .size:           12
        .value_kind:     by_value
      - .offset:         80
        .size:           4
        .value_kind:     hidden_block_count_x
      - .offset:         84
        .size:           4
        .value_kind:     hidden_block_count_y
      - .offset:         88
        .size:           4
        .value_kind:     hidden_block_count_z
      - .offset:         92
        .size:           2
        .value_kind:     hidden_group_size_x
      - .offset:         94
        .size:           2
        .value_kind:     hidden_group_size_y
      - .offset:         96
        .size:           2
        .value_kind:     hidden_group_size_z
      - .offset:         98
        .size:           2
        .value_kind:     hidden_remainder_x
      - .offset:         100
        .size:           2
        .value_kind:     hidden_remainder_y
      - .offset:         102
        .size:           2
        .value_kind:     hidden_remainder_z
      - .offset:         120
        .size:           8
        .value_kind:     hidden_global_offset_x
      - .offset:         128
        .size:           8
        .value_kind:     hidden_global_offset_y
      - .offset:         136
        .size:           8
        .value_kind:     hidden_global_offset_z
      - .offset:         144
        .size:           2
        .value_kind:     hidden_grid_dims
    .group_segment_fixed_size: 0
    .kernarg_segment_align: 8
    .kernarg_segment_size: 336
    .language:       OpenCL C
    .language_version:
      - 2
      - 0
    .max_flat_workgroup_size: 128
    .name:           _ZL33flash_attn_stream_k_fixup_generalILi128ELi1ELi1EEvPfPK15HIP_vector_typeIfLj2EEiiiiS1_IjLj3EES5_S5_S5_
    .private_segment_fixed_size: 0
    .sgpr_count:     48
    .sgpr_spill_count: 0
    .symbol:         _ZL33flash_attn_stream_k_fixup_generalILi128ELi1ELi1EEvPfPK15HIP_vector_typeIfLj2EEiiiiS1_IjLj3EES5_S5_S5_.kd
    .uniform_work_group_size: 1
    .uses_dynamic_stack: false
    .vgpr_count:     12
    .vgpr_spill_count: 0
    .wavefront_size: 32
  - .args:
      - .address_space:  global
        .offset:         0
        .size:           8
        .value_kind:     global_buffer
      - .address_space:  global
        .offset:         8
        .size:           8
        .value_kind:     global_buffer
      - .address_space:  global
        .offset:         16
        .size:           8
        .value_kind:     global_buffer
      - .offset:         24
        .size:           4
        .value_kind:     by_value
      - .offset:         32
        .size:           4
        .value_kind:     hidden_block_count_x
      - .offset:         36
        .size:           4
        .value_kind:     hidden_block_count_y
      - .offset:         40
        .size:           4
        .value_kind:     hidden_block_count_z
      - .offset:         44
        .size:           2
        .value_kind:     hidden_group_size_x
      - .offset:         46
        .size:           2
        .value_kind:     hidden_group_size_y
      - .offset:         48
        .size:           2
        .value_kind:     hidden_group_size_z
      - .offset:         50
        .size:           2
        .value_kind:     hidden_remainder_x
      - .offset:         52
        .size:           2
        .value_kind:     hidden_remainder_y
      - .offset:         54
        .size:           2
        .value_kind:     hidden_remainder_z
      - .offset:         72
        .size:           8
        .value_kind:     hidden_global_offset_x
      - .offset:         80
        .size:           8
        .value_kind:     hidden_global_offset_y
      - .offset:         88
        .size:           8
        .value_kind:     hidden_global_offset_z
      - .offset:         96
        .size:           2
        .value_kind:     hidden_grid_dims
      - .offset:         152
        .size:           4
        .value_kind:     hidden_dynamic_lds_size
    .group_segment_fixed_size: 0
    .kernarg_segment_align: 8
    .kernarg_segment_size: 288
    .language:       OpenCL C
    .language_version:
      - 2
      - 0
    .max_flat_workgroup_size: 128
    .name:           _ZL26flash_attn_combine_resultsILi128EEvPKfPK15HIP_vector_typeIfLj2EEPfi
    .private_segment_fixed_size: 0
    .sgpr_count:     45
    .sgpr_spill_count: 0
    .symbol:         _ZL26flash_attn_combine_resultsILi128EEvPKfPK15HIP_vector_typeIfLj2EEPfi.kd
    .uniform_work_group_size: 1
    .uses_dynamic_stack: false
    .vgpr_count:     36
    .vgpr_spill_count: 0
    .wavefront_size: 32
  - .args:
      - .address_space:  global
        .offset:         0
        .size:           8
        .value_kind:     global_buffer
      - .address_space:  global
        .offset:         8
        .size:           8
        .value_kind:     global_buffer
      - .address_space:  global
        .offset:         16
        .size:           8
        .value_kind:     global_buffer
      - .address_space:  global
        .offset:         24
        .size:           8
        .value_kind:     global_buffer
      - .address_space:  global
        .offset:         32
        .size:           8
        .value_kind:     global_buffer
      - .address_space:  global
        .offset:         40
        .size:           8
        .value_kind:     global_buffer
      - .address_space:  global
        .offset:         48
        .size:           8
        .value_kind:     global_buffer
      - .address_space:  global
        .offset:         56
        .size:           8
        .value_kind:     global_buffer
      - .offset:         64
        .size:           4
        .value_kind:     by_value
      - .offset:         68
        .size:           4
        .value_kind:     by_value
      - .offset:         72
        .size:           4
        .value_kind:     by_value
      - .offset:         76
        .size:           4
        .value_kind:     by_value
      - .offset:         80
        .size:           4
        .value_kind:     by_value
      - .offset:         84
        .size:           4
        .value_kind:     by_value
      - .offset:         88
        .size:           4
        .value_kind:     by_value
      - .offset:         92
        .size:           12
        .value_kind:     by_value
      - .offset:         104
        .size:           4
        .value_kind:     by_value
      - .offset:         108
        .size:           4
        .value_kind:     by_value
      - .offset:         112
        .size:           4
        .value_kind:     by_value
      - .offset:         116
        .size:           4
        .value_kind:     by_value
      - .offset:         120
        .size:           4
        .value_kind:     by_value
      - .offset:         124
        .size:           4
        .value_kind:     by_value
      - .offset:         128
        .size:           4
        .value_kind:     by_value
      - .offset:         132
        .size:           4
        .value_kind:     by_value
      - .offset:         136
        .size:           4
        .value_kind:     by_value
      - .offset:         140
        .size:           4
        .value_kind:     by_value
      - .offset:         144
        .size:           4
        .value_kind:     by_value
      - .offset:         152
        .size:           8
        .value_kind:     by_value
      - .offset:         160
        .size:           4
        .value_kind:     by_value
      - .offset:         164
        .size:           4
        .value_kind:     by_value
      - .offset:         168
        .size:           8
        .value_kind:     by_value
      - .offset:         176
        .size:           4
        .value_kind:     by_value
      - .offset:         180
        .size:           4
        .value_kind:     by_value
      - .offset:         184
        .size:           4
        .value_kind:     by_value
      - .offset:         188
        .size:           4
        .value_kind:     by_value
      - .offset:         192
        .size:           4
        .value_kind:     by_value
      - .offset:         200
        .size:           8
        .value_kind:     by_value
      - .offset:         208
        .size:           4
        .value_kind:     hidden_block_count_x
      - .offset:         212
        .size:           4
        .value_kind:     hidden_block_count_y
      - .offset:         216
        .size:           4
        .value_kind:     hidden_block_count_z
      - .offset:         220
        .size:           2
        .value_kind:     hidden_group_size_x
      - .offset:         222
        .size:           2
        .value_kind:     hidden_group_size_y
      - .offset:         224
        .size:           2
        .value_kind:     hidden_group_size_z
      - .offset:         226
        .size:           2
        .value_kind:     hidden_remainder_x
      - .offset:         228
        .size:           2
        .value_kind:     hidden_remainder_y
      - .offset:         230
        .size:           2
        .value_kind:     hidden_remainder_z
      - .offset:         248
        .size:           8
        .value_kind:     hidden_global_offset_x
      - .offset:         256
        .size:           8
        .value_kind:     hidden_global_offset_y
      - .offset:         264
        .size:           8
        .value_kind:     hidden_global_offset_z
      - .offset:         272
        .size:           2
        .value_kind:     hidden_grid_dims
    .group_segment_fixed_size: 4352
    .kernarg_segment_align: 8
    .kernarg_segment_size: 464
    .language:       OpenCL C
    .language_version:
      - 2
      - 0
    .max_flat_workgroup_size: 128
    .name:           _ZL18flash_attn_ext_vecILi128ELi1EL9ggml_type1ELS0_1ELb1EEvPKcS2_S2_S2_S2_PKiPfP15HIP_vector_typeIfLj2EEffffjfiS6_IjLj3EEiiiiiiiiiiiliiliiiiil
    .private_segment_fixed_size: 0
    .sgpr_count:     48
    .sgpr_spill_count: 0
    .symbol:         _ZL18flash_attn_ext_vecILi128ELi1EL9ggml_type1ELS0_1ELb1EEvPKcS2_S2_S2_S2_PKiPfP15HIP_vector_typeIfLj2EEffffjfiS6_IjLj3EEiiiiiiiiiiiliiliiiiil.kd
    .uniform_work_group_size: 1
    .uses_dynamic_stack: false
    .vgpr_count:     146
    .vgpr_spill_count: 0
    .wavefront_size: 32
  - .args:
      - .address_space:  global
        .offset:         0
        .size:           8
        .value_kind:     global_buffer
      - .address_space:  global
        .offset:         8
        .size:           8
        .value_kind:     global_buffer
      - .address_space:  global
        .offset:         16
        .size:           8
        .value_kind:     global_buffer
      - .address_space:  global
        .offset:         24
        .size:           8
        .value_kind:     global_buffer
      - .address_space:  global
        .offset:         32
        .size:           8
        .value_kind:     global_buffer
      - .address_space:  global
        .offset:         40
        .size:           8
        .value_kind:     global_buffer
      - .address_space:  global
        .offset:         48
        .size:           8
        .value_kind:     global_buffer
      - .address_space:  global
        .offset:         56
        .size:           8
        .value_kind:     global_buffer
      - .offset:         64
        .size:           4
        .value_kind:     by_value
      - .offset:         68
        .size:           4
        .value_kind:     by_value
      - .offset:         72
        .size:           4
        .value_kind:     by_value
      - .offset:         76
        .size:           4
        .value_kind:     by_value
      - .offset:         80
        .size:           4
        .value_kind:     by_value
      - .offset:         84
        .size:           4
        .value_kind:     by_value
      - .offset:         88
        .size:           4
        .value_kind:     by_value
      - .offset:         92
        .size:           12
        .value_kind:     by_value
      - .offset:         104
        .size:           4
        .value_kind:     by_value
      - .offset:         108
        .size:           4
        .value_kind:     by_value
      - .offset:         112
        .size:           4
        .value_kind:     by_value
      - .offset:         116
        .size:           4
        .value_kind:     by_value
      - .offset:         120
        .size:           4
        .value_kind:     by_value
      - .offset:         124
        .size:           4
        .value_kind:     by_value
      - .offset:         128
        .size:           4
        .value_kind:     by_value
      - .offset:         132
        .size:           4
        .value_kind:     by_value
      - .offset:         136
        .size:           4
        .value_kind:     by_value
      - .offset:         140
        .size:           4
        .value_kind:     by_value
      - .offset:         144
        .size:           4
        .value_kind:     by_value
      - .offset:         152
        .size:           8
        .value_kind:     by_value
      - .offset:         160
        .size:           4
        .value_kind:     by_value
      - .offset:         164
        .size:           4
        .value_kind:     by_value
      - .offset:         168
        .size:           8
        .value_kind:     by_value
      - .offset:         176
        .size:           4
        .value_kind:     by_value
      - .offset:         180
        .size:           4
        .value_kind:     by_value
      - .offset:         184
        .size:           4
        .value_kind:     by_value
      - .offset:         188
        .size:           4
        .value_kind:     by_value
      - .offset:         192
        .size:           4
        .value_kind:     by_value
      - .offset:         200
        .size:           8
        .value_kind:     by_value
      - .offset:         208
        .size:           4
        .value_kind:     hidden_block_count_x
      - .offset:         212
        .size:           4
        .value_kind:     hidden_block_count_y
      - .offset:         216
        .size:           4
        .value_kind:     hidden_block_count_z
      - .offset:         220
        .size:           2
        .value_kind:     hidden_group_size_x
      - .offset:         222
        .size:           2
        .value_kind:     hidden_group_size_y
      - .offset:         224
        .size:           2
        .value_kind:     hidden_group_size_z
      - .offset:         226
        .size:           2
        .value_kind:     hidden_remainder_x
      - .offset:         228
        .size:           2
        .value_kind:     hidden_remainder_y
      - .offset:         230
        .size:           2
        .value_kind:     hidden_remainder_z
      - .offset:         248
        .size:           8
        .value_kind:     hidden_global_offset_x
      - .offset:         256
        .size:           8
        .value_kind:     hidden_global_offset_y
      - .offset:         264
        .size:           8
        .value_kind:     hidden_global_offset_z
      - .offset:         272
        .size:           2
        .value_kind:     hidden_grid_dims
    .group_segment_fixed_size: 12800
    .kernarg_segment_align: 8
    .kernarg_segment_size: 464
    .language:       OpenCL C
    .language_version:
      - 2
      - 0
    .max_flat_workgroup_size: 128
    .name:           _ZL18flash_attn_ext_vecILi128ELi2EL9ggml_type1ELS0_1ELb0EEvPKcS2_S2_S2_S2_PKiPfP15HIP_vector_typeIfLj2EEffffjfiS6_IjLj3EEiiiiiiiiiiiliiliiiiil
    .private_segment_fixed_size: 0
    .sgpr_count:     55
    .sgpr_spill_count: 0
    .symbol:         _ZL18flash_attn_ext_vecILi128ELi2EL9ggml_type1ELS0_1ELb0EEvPKcS2_S2_S2_S2_PKiPfP15HIP_vector_typeIfLj2EEffffjfiS6_IjLj3EEiiiiiiiiiiiliiliiiiil.kd
    .uniform_work_group_size: 1
    .uses_dynamic_stack: false
    .vgpr_count:     187
    .vgpr_spill_count: 0
    .wavefront_size: 32
  - .args:
      - .address_space:  global
        .offset:         0
        .size:           8
        .value_kind:     global_buffer
      - .address_space:  global
        .offset:         8
        .size:           8
        .value_kind:     global_buffer
      - .offset:         16
        .size:           4
        .value_kind:     by_value
      - .offset:         20
        .size:           4
        .value_kind:     by_value
      - .offset:         24
        .size:           4
        .value_kind:     by_value
      - .offset:         28
        .size:           4
        .value_kind:     by_value
      - .offset:         32
        .size:           4
        .value_kind:     by_value
      - .offset:         36
        .size:           4
        .value_kind:     by_value
      - .offset:         40
        .size:           12
        .value_kind:     by_value
      - .offset:         52
        .size:           12
        .value_kind:     by_value
      - .offset:         64
        .size:           12
        .value_kind:     by_value
    .group_segment_fixed_size: 0
    .kernarg_segment_align: 8
    .kernarg_segment_size: 76
    .language:       OpenCL C
    .language_version:
      - 2
      - 0
    .max_flat_workgroup_size: 128
    .name:           _ZL33flash_attn_stream_k_fixup_uniformILi128ELi2ELi1EEvPfPK15HIP_vector_typeIfLj2EEiiiiiiS1_IjLj3EES5_S5_
    .private_segment_fixed_size: 0
    .sgpr_count:     23
    .sgpr_spill_count: 0
    .symbol:         _ZL33flash_attn_stream_k_fixup_uniformILi128ELi2ELi1EEvPfPK15HIP_vector_typeIfLj2EEiiiiiiS1_IjLj3EES5_S5_.kd
    .uniform_work_group_size: 1
    .uses_dynamic_stack: false
    .vgpr_count:     12
    .vgpr_spill_count: 0
    .wavefront_size: 32
  - .args:
      - .address_space:  global
        .offset:         0
        .size:           8
        .value_kind:     global_buffer
      - .address_space:  global
        .offset:         8
        .size:           8
        .value_kind:     global_buffer
      - .offset:         16
        .size:           4
        .value_kind:     by_value
      - .offset:         20
        .size:           4
        .value_kind:     by_value
      - .offset:         24
        .size:           4
        .value_kind:     by_value
      - .offset:         28
        .size:           4
        .value_kind:     by_value
      - .offset:         32
        .size:           12
        .value_kind:     by_value
      - .offset:         44
        .size:           12
        .value_kind:     by_value
      - .offset:         56
        .size:           12
        .value_kind:     by_value
      - .offset:         68
        .size:           12
        .value_kind:     by_value
      - .offset:         80
        .size:           4
        .value_kind:     hidden_block_count_x
      - .offset:         84
        .size:           4
        .value_kind:     hidden_block_count_y
      - .offset:         88
        .size:           4
        .value_kind:     hidden_block_count_z
      - .offset:         92
        .size:           2
        .value_kind:     hidden_group_size_x
      - .offset:         94
        .size:           2
        .value_kind:     hidden_group_size_y
      - .offset:         96
        .size:           2
        .value_kind:     hidden_group_size_z
      - .offset:         98
        .size:           2
        .value_kind:     hidden_remainder_x
      - .offset:         100
        .size:           2
        .value_kind:     hidden_remainder_y
      - .offset:         102
        .size:           2
        .value_kind:     hidden_remainder_z
      - .offset:         120
        .size:           8
        .value_kind:     hidden_global_offset_x
      - .offset:         128
        .size:           8
        .value_kind:     hidden_global_offset_y
      - .offset:         136
        .size:           8
        .value_kind:     hidden_global_offset_z
      - .offset:         144
        .size:           2
        .value_kind:     hidden_grid_dims
    .group_segment_fixed_size: 0
    .kernarg_segment_align: 8
    .kernarg_segment_size: 336
    .language:       OpenCL C
    .language_version:
      - 2
      - 0
    .max_flat_workgroup_size: 128
    .name:           _ZL33flash_attn_stream_k_fixup_generalILi128ELi2ELi1EEvPfPK15HIP_vector_typeIfLj2EEiiiiS1_IjLj3EES5_S5_S5_
    .private_segment_fixed_size: 0
    .sgpr_count:     48
    .sgpr_spill_count: 0
    .symbol:         _ZL33flash_attn_stream_k_fixup_generalILi128ELi2ELi1EEvPfPK15HIP_vector_typeIfLj2EEiiiiS1_IjLj3EES5_S5_S5_.kd
    .uniform_work_group_size: 1
    .uses_dynamic_stack: false
    .vgpr_count:     12
    .vgpr_spill_count: 0
    .wavefront_size: 32
  - .args:
      - .address_space:  global
        .offset:         0
        .size:           8
        .value_kind:     global_buffer
      - .address_space:  global
        .offset:         8
        .size:           8
        .value_kind:     global_buffer
      - .address_space:  global
        .offset:         16
        .size:           8
        .value_kind:     global_buffer
      - .address_space:  global
        .offset:         24
        .size:           8
        .value_kind:     global_buffer
      - .address_space:  global
        .offset:         32
        .size:           8
        .value_kind:     global_buffer
      - .address_space:  global
        .offset:         40
        .size:           8
        .value_kind:     global_buffer
      - .address_space:  global
        .offset:         48
        .size:           8
        .value_kind:     global_buffer
      - .address_space:  global
        .offset:         56
        .size:           8
        .value_kind:     global_buffer
      - .offset:         64
        .size:           4
        .value_kind:     by_value
      - .offset:         68
        .size:           4
        .value_kind:     by_value
      - .offset:         72
        .size:           4
        .value_kind:     by_value
      - .offset:         76
        .size:           4
        .value_kind:     by_value
      - .offset:         80
        .size:           4
        .value_kind:     by_value
      - .offset:         84
        .size:           4
        .value_kind:     by_value
      - .offset:         88
        .size:           4
        .value_kind:     by_value
      - .offset:         92
        .size:           12
        .value_kind:     by_value
      - .offset:         104
        .size:           4
        .value_kind:     by_value
      - .offset:         108
        .size:           4
        .value_kind:     by_value
      - .offset:         112
        .size:           4
        .value_kind:     by_value
      - .offset:         116
        .size:           4
        .value_kind:     by_value
      - .offset:         120
        .size:           4
        .value_kind:     by_value
      - .offset:         124
        .size:           4
        .value_kind:     by_value
      - .offset:         128
        .size:           4
        .value_kind:     by_value
      - .offset:         132
        .size:           4
        .value_kind:     by_value
      - .offset:         136
        .size:           4
        .value_kind:     by_value
      - .offset:         140
        .size:           4
        .value_kind:     by_value
      - .offset:         144
        .size:           4
        .value_kind:     by_value
      - .offset:         152
        .size:           8
        .value_kind:     by_value
      - .offset:         160
        .size:           4
        .value_kind:     by_value
      - .offset:         164
        .size:           4
        .value_kind:     by_value
      - .offset:         168
        .size:           8
        .value_kind:     by_value
      - .offset:         176
        .size:           4
        .value_kind:     by_value
      - .offset:         180
        .size:           4
        .value_kind:     by_value
      - .offset:         184
        .size:           4
        .value_kind:     by_value
      - .offset:         188
        .size:           4
        .value_kind:     by_value
      - .offset:         192
        .size:           4
        .value_kind:     by_value
      - .offset:         200
        .size:           8
        .value_kind:     by_value
      - .offset:         208
        .size:           4
        .value_kind:     hidden_block_count_x
      - .offset:         212
        .size:           4
        .value_kind:     hidden_block_count_y
      - .offset:         216
        .size:           4
        .value_kind:     hidden_block_count_z
      - .offset:         220
        .size:           2
        .value_kind:     hidden_group_size_x
      - .offset:         222
        .size:           2
        .value_kind:     hidden_group_size_y
      - .offset:         224
        .size:           2
        .value_kind:     hidden_group_size_z
      - .offset:         226
        .size:           2
        .value_kind:     hidden_remainder_x
      - .offset:         228
        .size:           2
        .value_kind:     hidden_remainder_y
      - .offset:         230
        .size:           2
        .value_kind:     hidden_remainder_z
      - .offset:         248
        .size:           8
        .value_kind:     hidden_global_offset_x
      - .offset:         256
        .size:           8
        .value_kind:     hidden_global_offset_y
      - .offset:         264
        .size:           8
        .value_kind:     hidden_global_offset_z
      - .offset:         272
        .size:           2
        .value_kind:     hidden_grid_dims
    .group_segment_fixed_size: 12800
    .kernarg_segment_align: 8
    .kernarg_segment_size: 464
    .language:       OpenCL C
    .language_version:
      - 2
      - 0
    .max_flat_workgroup_size: 128
    .name:           _ZL18flash_attn_ext_vecILi128ELi2EL9ggml_type1ELS0_1ELb1EEvPKcS2_S2_S2_S2_PKiPfP15HIP_vector_typeIfLj2EEffffjfiS6_IjLj3EEiiiiiiiiiiiliiliiiiil
    .private_segment_fixed_size: 0
    .sgpr_count:     55
    .sgpr_spill_count: 0
    .symbol:         _ZL18flash_attn_ext_vecILi128ELi2EL9ggml_type1ELS0_1ELb1EEvPKcS2_S2_S2_S2_PKiPfP15HIP_vector_typeIfLj2EEffffjfiS6_IjLj3EEiiiiiiiiiiiliiliiiiil.kd
    .uniform_work_group_size: 1
    .uses_dynamic_stack: false
    .vgpr_count:     187
    .vgpr_spill_count: 0
    .wavefront_size: 32
  - .args:
      - .address_space:  global
        .offset:         0
        .size:           8
        .value_kind:     global_buffer
      - .address_space:  global
        .offset:         8
        .size:           8
        .value_kind:     global_buffer
      - .address_space:  global
        .offset:         16
        .size:           8
        .value_kind:     global_buffer
      - .address_space:  global
        .offset:         24
        .size:           8
        .value_kind:     global_buffer
      - .address_space:  global
        .offset:         32
        .size:           8
        .value_kind:     global_buffer
      - .address_space:  global
        .offset:         40
        .size:           8
        .value_kind:     global_buffer
      - .address_space:  global
        .offset:         48
        .size:           8
        .value_kind:     global_buffer
      - .address_space:  global
        .offset:         56
        .size:           8
        .value_kind:     global_buffer
      - .offset:         64
        .size:           4
        .value_kind:     by_value
      - .offset:         68
        .size:           4
        .value_kind:     by_value
      - .offset:         72
        .size:           4
        .value_kind:     by_value
      - .offset:         76
        .size:           4
        .value_kind:     by_value
      - .offset:         80
        .size:           4
        .value_kind:     by_value
      - .offset:         84
        .size:           4
        .value_kind:     by_value
      - .offset:         88
        .size:           4
        .value_kind:     by_value
      - .offset:         92
        .size:           12
        .value_kind:     by_value
      - .offset:         104
        .size:           4
        .value_kind:     by_value
      - .offset:         108
        .size:           4
        .value_kind:     by_value
      - .offset:         112
        .size:           4
        .value_kind:     by_value
      - .offset:         116
        .size:           4
        .value_kind:     by_value
      - .offset:         120
        .size:           4
        .value_kind:     by_value
      - .offset:         124
        .size:           4
        .value_kind:     by_value
      - .offset:         128
        .size:           4
        .value_kind:     by_value
      - .offset:         132
        .size:           4
        .value_kind:     by_value
      - .offset:         136
        .size:           4
        .value_kind:     by_value
      - .offset:         140
        .size:           4
        .value_kind:     by_value
      - .offset:         144
        .size:           4
        .value_kind:     by_value
      - .offset:         152
        .size:           8
        .value_kind:     by_value
      - .offset:         160
        .size:           4
        .value_kind:     by_value
      - .offset:         164
        .size:           4
        .value_kind:     by_value
      - .offset:         168
        .size:           8
        .value_kind:     by_value
      - .offset:         176
        .size:           4
        .value_kind:     by_value
      - .offset:         180
        .size:           4
        .value_kind:     by_value
      - .offset:         184
        .size:           4
        .value_kind:     by_value
      - .offset:         188
        .size:           4
        .value_kind:     by_value
      - .offset:         192
        .size:           4
        .value_kind:     by_value
      - .offset:         200
        .size:           8
        .value_kind:     by_value
      - .offset:         208
        .size:           4
        .value_kind:     hidden_block_count_x
      - .offset:         212
        .size:           4
        .value_kind:     hidden_block_count_y
      - .offset:         216
        .size:           4
        .value_kind:     hidden_block_count_z
      - .offset:         220
        .size:           2
        .value_kind:     hidden_group_size_x
      - .offset:         222
        .size:           2
        .value_kind:     hidden_group_size_y
      - .offset:         224
        .size:           2
        .value_kind:     hidden_group_size_z
      - .offset:         226
        .size:           2
        .value_kind:     hidden_remainder_x
      - .offset:         228
        .size:           2
        .value_kind:     hidden_remainder_y
      - .offset:         230
        .size:           2
        .value_kind:     hidden_remainder_z
      - .offset:         248
        .size:           8
        .value_kind:     hidden_global_offset_x
      - .offset:         256
        .size:           8
        .value_kind:     hidden_global_offset_y
      - .offset:         264
        .size:           8
        .value_kind:     hidden_global_offset_z
      - .offset:         272
        .size:           2
        .value_kind:     hidden_grid_dims
    .group_segment_fixed_size: 8448
    .kernarg_segment_align: 8
    .kernarg_segment_size: 464
    .language:       OpenCL C
    .language_version:
      - 2
      - 0
    .max_flat_workgroup_size: 128
    .name:           _ZL18flash_attn_ext_vecILi256ELi1EL9ggml_type1ELS0_1ELb0EEvPKcS2_S2_S2_S2_PKiPfP15HIP_vector_typeIfLj2EEffffjfiS6_IjLj3EEiiiiiiiiiiiliiliiiiil
    .private_segment_fixed_size: 0
    .sgpr_count:     49
    .sgpr_spill_count: 0
    .symbol:         _ZL18flash_attn_ext_vecILi256ELi1EL9ggml_type1ELS0_1ELb0EEvPKcS2_S2_S2_S2_PKiPfP15HIP_vector_typeIfLj2EEffffjfiS6_IjLj3EEiiiiiiiiiiiliiliiiiil.kd
    .uniform_work_group_size: 1
    .uses_dynamic_stack: false
    .vgpr_count:     222
    .vgpr_spill_count: 0
    .wavefront_size: 32
  - .args:
      - .address_space:  global
        .offset:         0
        .size:           8
        .value_kind:     global_buffer
      - .address_space:  global
        .offset:         8
        .size:           8
        .value_kind:     global_buffer
      - .offset:         16
        .size:           4
        .value_kind:     by_value
      - .offset:         20
        .size:           4
        .value_kind:     by_value
      - .offset:         24
        .size:           4
        .value_kind:     by_value
      - .offset:         28
        .size:           4
        .value_kind:     by_value
      - .offset:         32
        .size:           4
        .value_kind:     by_value
      - .offset:         36
        .size:           4
        .value_kind:     by_value
      - .offset:         40
        .size:           12
        .value_kind:     by_value
      - .offset:         52
        .size:           12
        .value_kind:     by_value
      - .offset:         64
        .size:           12
        .value_kind:     by_value
    .group_segment_fixed_size: 0
    .kernarg_segment_align: 8
    .kernarg_segment_size: 76
    .language:       OpenCL C
    .language_version:
      - 2
      - 0
    .max_flat_workgroup_size: 256
    .name:           _ZL33flash_attn_stream_k_fixup_uniformILi256ELi1ELi1EEvPfPK15HIP_vector_typeIfLj2EEiiiiiiS1_IjLj3EES5_S5_
    .private_segment_fixed_size: 0
    .sgpr_count:     23
    .sgpr_spill_count: 0
    .symbol:         _ZL33flash_attn_stream_k_fixup_uniformILi256ELi1ELi1EEvPfPK15HIP_vector_typeIfLj2EEiiiiiiS1_IjLj3EES5_S5_.kd
    .uniform_work_group_size: 1
    .uses_dynamic_stack: false
    .vgpr_count:     12
    .vgpr_spill_count: 0
    .wavefront_size: 32
  - .args:
      - .address_space:  global
        .offset:         0
        .size:           8
        .value_kind:     global_buffer
      - .address_space:  global
        .offset:         8
        .size:           8
        .value_kind:     global_buffer
      - .offset:         16
        .size:           4
        .value_kind:     by_value
      - .offset:         20
        .size:           4
        .value_kind:     by_value
      - .offset:         24
        .size:           4
        .value_kind:     by_value
      - .offset:         28
        .size:           4
        .value_kind:     by_value
      - .offset:         32
        .size:           12
        .value_kind:     by_value
      - .offset:         44
        .size:           12
        .value_kind:     by_value
      - .offset:         56
        .size:           12
        .value_kind:     by_value
      - .offset:         68
        .size:           12
        .value_kind:     by_value
      - .offset:         80
        .size:           4
        .value_kind:     hidden_block_count_x
      - .offset:         84
        .size:           4
        .value_kind:     hidden_block_count_y
      - .offset:         88
        .size:           4
        .value_kind:     hidden_block_count_z
      - .offset:         92
        .size:           2
        .value_kind:     hidden_group_size_x
      - .offset:         94
        .size:           2
        .value_kind:     hidden_group_size_y
      - .offset:         96
        .size:           2
        .value_kind:     hidden_group_size_z
      - .offset:         98
        .size:           2
        .value_kind:     hidden_remainder_x
      - .offset:         100
        .size:           2
        .value_kind:     hidden_remainder_y
      - .offset:         102
        .size:           2
        .value_kind:     hidden_remainder_z
      - .offset:         120
        .size:           8
        .value_kind:     hidden_global_offset_x
      - .offset:         128
        .size:           8
        .value_kind:     hidden_global_offset_y
      - .offset:         136
        .size:           8
        .value_kind:     hidden_global_offset_z
      - .offset:         144
        .size:           2
        .value_kind:     hidden_grid_dims
    .group_segment_fixed_size: 0
    .kernarg_segment_align: 8
    .kernarg_segment_size: 336
    .language:       OpenCL C
    .language_version:
      - 2
      - 0
    .max_flat_workgroup_size: 256
    .name:           _ZL33flash_attn_stream_k_fixup_generalILi256ELi1ELi1EEvPfPK15HIP_vector_typeIfLj2EEiiiiS1_IjLj3EES5_S5_S5_
    .private_segment_fixed_size: 0
    .sgpr_count:     48
    .sgpr_spill_count: 0
    .symbol:         _ZL33flash_attn_stream_k_fixup_generalILi256ELi1ELi1EEvPfPK15HIP_vector_typeIfLj2EEiiiiS1_IjLj3EES5_S5_S5_.kd
    .uniform_work_group_size: 1
    .uses_dynamic_stack: false
    .vgpr_count:     12
    .vgpr_spill_count: 0
    .wavefront_size: 32
  - .args:
      - .address_space:  global
        .offset:         0
        .size:           8
        .value_kind:     global_buffer
      - .address_space:  global
        .offset:         8
        .size:           8
        .value_kind:     global_buffer
      - .address_space:  global
        .offset:         16
        .size:           8
        .value_kind:     global_buffer
      - .offset:         24
        .size:           4
        .value_kind:     by_value
      - .offset:         32
        .size:           4
        .value_kind:     hidden_block_count_x
      - .offset:         36
        .size:           4
        .value_kind:     hidden_block_count_y
      - .offset:         40
        .size:           4
        .value_kind:     hidden_block_count_z
      - .offset:         44
        .size:           2
        .value_kind:     hidden_group_size_x
      - .offset:         46
        .size:           2
        .value_kind:     hidden_group_size_y
      - .offset:         48
        .size:           2
        .value_kind:     hidden_group_size_z
      - .offset:         50
        .size:           2
        .value_kind:     hidden_remainder_x
      - .offset:         52
        .size:           2
        .value_kind:     hidden_remainder_y
      - .offset:         54
        .size:           2
        .value_kind:     hidden_remainder_z
      - .offset:         72
        .size:           8
        .value_kind:     hidden_global_offset_x
      - .offset:         80
        .size:           8
        .value_kind:     hidden_global_offset_y
      - .offset:         88
        .size:           8
        .value_kind:     hidden_global_offset_z
      - .offset:         96
        .size:           2
        .value_kind:     hidden_grid_dims
      - .offset:         152
        .size:           4
        .value_kind:     hidden_dynamic_lds_size
    .group_segment_fixed_size: 0
    .kernarg_segment_align: 8
    .kernarg_segment_size: 288
    .language:       OpenCL C
    .language_version:
      - 2
      - 0
    .max_flat_workgroup_size: 256
    .name:           _ZL26flash_attn_combine_resultsILi256EEvPKfPK15HIP_vector_typeIfLj2EEPfi
    .private_segment_fixed_size: 0
    .sgpr_count:     45
    .sgpr_spill_count: 0
    .symbol:         _ZL26flash_attn_combine_resultsILi256EEvPKfPK15HIP_vector_typeIfLj2EEPfi.kd
    .uniform_work_group_size: 1
    .uses_dynamic_stack: false
    .vgpr_count:     36
    .vgpr_spill_count: 0
    .wavefront_size: 32
  - .args:
      - .address_space:  global
        .offset:         0
        .size:           8
        .value_kind:     global_buffer
      - .address_space:  global
        .offset:         8
        .size:           8
        .value_kind:     global_buffer
      - .address_space:  global
        .offset:         16
        .size:           8
        .value_kind:     global_buffer
      - .address_space:  global
        .offset:         24
        .size:           8
        .value_kind:     global_buffer
      - .address_space:  global
        .offset:         32
        .size:           8
        .value_kind:     global_buffer
      - .address_space:  global
        .offset:         40
        .size:           8
        .value_kind:     global_buffer
      - .address_space:  global
        .offset:         48
        .size:           8
        .value_kind:     global_buffer
      - .address_space:  global
        .offset:         56
        .size:           8
        .value_kind:     global_buffer
      - .offset:         64
        .size:           4
        .value_kind:     by_value
      - .offset:         68
        .size:           4
        .value_kind:     by_value
      - .offset:         72
        .size:           4
        .value_kind:     by_value
      - .offset:         76
        .size:           4
        .value_kind:     by_value
      - .offset:         80
        .size:           4
        .value_kind:     by_value
      - .offset:         84
        .size:           4
        .value_kind:     by_value
      - .offset:         88
        .size:           4
        .value_kind:     by_value
      - .offset:         92
        .size:           12
        .value_kind:     by_value
      - .offset:         104
        .size:           4
        .value_kind:     by_value
      - .offset:         108
        .size:           4
        .value_kind:     by_value
      - .offset:         112
        .size:           4
        .value_kind:     by_value
      - .offset:         116
        .size:           4
        .value_kind:     by_value
      - .offset:         120
        .size:           4
        .value_kind:     by_value
      - .offset:         124
        .size:           4
        .value_kind:     by_value
      - .offset:         128
        .size:           4
        .value_kind:     by_value
      - .offset:         132
        .size:           4
        .value_kind:     by_value
      - .offset:         136
        .size:           4
        .value_kind:     by_value
      - .offset:         140
        .size:           4
        .value_kind:     by_value
      - .offset:         144
        .size:           4
        .value_kind:     by_value
      - .offset:         152
        .size:           8
        .value_kind:     by_value
      - .offset:         160
        .size:           4
        .value_kind:     by_value
      - .offset:         164
        .size:           4
        .value_kind:     by_value
      - .offset:         168
        .size:           8
        .value_kind:     by_value
      - .offset:         176
        .size:           4
        .value_kind:     by_value
      - .offset:         180
        .size:           4
        .value_kind:     by_value
      - .offset:         184
        .size:           4
        .value_kind:     by_value
      - .offset:         188
        .size:           4
        .value_kind:     by_value
      - .offset:         192
        .size:           4
        .value_kind:     by_value
      - .offset:         200
        .size:           8
        .value_kind:     by_value
      - .offset:         208
        .size:           4
        .value_kind:     hidden_block_count_x
      - .offset:         212
        .size:           4
        .value_kind:     hidden_block_count_y
      - .offset:         216
        .size:           4
        .value_kind:     hidden_block_count_z
      - .offset:         220
        .size:           2
        .value_kind:     hidden_group_size_x
      - .offset:         222
        .size:           2
        .value_kind:     hidden_group_size_y
      - .offset:         224
        .size:           2
        .value_kind:     hidden_group_size_z
      - .offset:         226
        .size:           2
        .value_kind:     hidden_remainder_x
      - .offset:         228
        .size:           2
        .value_kind:     hidden_remainder_y
      - .offset:         230
        .size:           2
        .value_kind:     hidden_remainder_z
      - .offset:         248
        .size:           8
        .value_kind:     hidden_global_offset_x
      - .offset:         256
        .size:           8
        .value_kind:     hidden_global_offset_y
      - .offset:         264
        .size:           8
        .value_kind:     hidden_global_offset_z
      - .offset:         272
        .size:           2
        .value_kind:     hidden_grid_dims
    .group_segment_fixed_size: 8448
    .kernarg_segment_align: 8
    .kernarg_segment_size: 464
    .language:       OpenCL C
    .language_version:
      - 2
      - 0
    .max_flat_workgroup_size: 128
    .name:           _ZL18flash_attn_ext_vecILi256ELi1EL9ggml_type1ELS0_1ELb1EEvPKcS2_S2_S2_S2_PKiPfP15HIP_vector_typeIfLj2EEffffjfiS6_IjLj3EEiiiiiiiiiiiliiliiiiil
    .private_segment_fixed_size: 0
    .sgpr_count:     51
    .sgpr_spill_count: 0
    .symbol:         _ZL18flash_attn_ext_vecILi256ELi1EL9ggml_type1ELS0_1ELb1EEvPKcS2_S2_S2_S2_PKiPfP15HIP_vector_typeIfLj2EEffffjfiS6_IjLj3EEiiiiiiiiiiiliiliiiiil.kd
    .uniform_work_group_size: 1
    .uses_dynamic_stack: false
    .vgpr_count:     224
    .vgpr_spill_count: 0
    .wavefront_size: 32
  - .args:
      - .address_space:  global
        .offset:         0
        .size:           8
        .value_kind:     global_buffer
      - .address_space:  global
        .offset:         8
        .size:           8
        .value_kind:     global_buffer
      - .address_space:  global
        .offset:         16
        .size:           8
        .value_kind:     global_buffer
      - .address_space:  global
        .offset:         24
        .size:           8
        .value_kind:     global_buffer
      - .address_space:  global
        .offset:         32
        .size:           8
        .value_kind:     global_buffer
      - .address_space:  global
        .offset:         40
        .size:           8
        .value_kind:     global_buffer
      - .address_space:  global
        .offset:         48
        .size:           8
        .value_kind:     global_buffer
      - .address_space:  global
        .offset:         56
        .size:           8
        .value_kind:     global_buffer
      - .offset:         64
        .size:           4
        .value_kind:     by_value
      - .offset:         68
        .size:           4
        .value_kind:     by_value
      - .offset:         72
        .size:           4
        .value_kind:     by_value
      - .offset:         76
        .size:           4
        .value_kind:     by_value
      - .offset:         80
        .size:           4
        .value_kind:     by_value
      - .offset:         84
        .size:           4
        .value_kind:     by_value
      - .offset:         88
        .size:           4
        .value_kind:     by_value
      - .offset:         92
        .size:           12
        .value_kind:     by_value
      - .offset:         104
        .size:           4
        .value_kind:     by_value
      - .offset:         108
        .size:           4
        .value_kind:     by_value
      - .offset:         112
        .size:           4
        .value_kind:     by_value
      - .offset:         116
        .size:           4
        .value_kind:     by_value
      - .offset:         120
        .size:           4
        .value_kind:     by_value
      - .offset:         124
        .size:           4
        .value_kind:     by_value
      - .offset:         128
        .size:           4
        .value_kind:     by_value
      - .offset:         132
        .size:           4
        .value_kind:     by_value
      - .offset:         136
        .size:           4
        .value_kind:     by_value
      - .offset:         140
        .size:           4
        .value_kind:     by_value
      - .offset:         144
        .size:           4
        .value_kind:     by_value
      - .offset:         152
        .size:           8
        .value_kind:     by_value
      - .offset:         160
        .size:           4
        .value_kind:     by_value
      - .offset:         164
        .size:           4
        .value_kind:     by_value
      - .offset:         168
        .size:           8
        .value_kind:     by_value
      - .offset:         176
        .size:           4
        .value_kind:     by_value
      - .offset:         180
        .size:           4
        .value_kind:     by_value
      - .offset:         184
        .size:           4
        .value_kind:     by_value
      - .offset:         188
        .size:           4
        .value_kind:     by_value
      - .offset:         192
        .size:           4
        .value_kind:     by_value
      - .offset:         200
        .size:           8
        .value_kind:     by_value
      - .offset:         208
        .size:           4
        .value_kind:     hidden_block_count_x
      - .offset:         212
        .size:           4
        .value_kind:     hidden_block_count_y
      - .offset:         216
        .size:           4
        .value_kind:     hidden_block_count_z
      - .offset:         220
        .size:           2
        .value_kind:     hidden_group_size_x
      - .offset:         222
        .size:           2
        .value_kind:     hidden_group_size_y
      - .offset:         224
        .size:           2
        .value_kind:     hidden_group_size_z
      - .offset:         226
        .size:           2
        .value_kind:     hidden_remainder_x
      - .offset:         228
        .size:           2
        .value_kind:     hidden_remainder_y
      - .offset:         230
        .size:           2
        .value_kind:     hidden_remainder_z
      - .offset:         248
        .size:           8
        .value_kind:     hidden_global_offset_x
      - .offset:         256
        .size:           8
        .value_kind:     hidden_global_offset_y
      - .offset:         264
        .size:           8
        .value_kind:     hidden_global_offset_z
      - .offset:         272
        .size:           2
        .value_kind:     hidden_grid_dims
    .group_segment_fixed_size: 8704
    .kernarg_segment_align: 8
    .kernarg_segment_size: 464
    .language:       OpenCL C
    .language_version:
      - 2
      - 0
    .max_flat_workgroup_size: 128
    .name:           _ZL18flash_attn_ext_vecILi256ELi2EL9ggml_type1ELS0_1ELb0EEvPKcS2_S2_S2_S2_PKiPfP15HIP_vector_typeIfLj2EEffffjfiS6_IjLj3EEiiiiiiiiiiiliiliiiiil
    .private_segment_fixed_size: 144
    .sgpr_count:     54
    .sgpr_spill_count: 0
    .symbol:         _ZL18flash_attn_ext_vecILi256ELi2EL9ggml_type1ELS0_1ELb0EEvPKcS2_S2_S2_S2_PKiPfP15HIP_vector_typeIfLj2EEffffjfiS6_IjLj3EEiiiiiiiiiiiliiliiiiil.kd
    .uniform_work_group_size: 1
    .uses_dynamic_stack: false
    .vgpr_count:     254
    .vgpr_spill_count: 0
    .wavefront_size: 32
  - .args:
      - .address_space:  global
        .offset:         0
        .size:           8
        .value_kind:     global_buffer
      - .address_space:  global
        .offset:         8
        .size:           8
        .value_kind:     global_buffer
      - .offset:         16
        .size:           4
        .value_kind:     by_value
      - .offset:         20
        .size:           4
        .value_kind:     by_value
      - .offset:         24
        .size:           4
        .value_kind:     by_value
      - .offset:         28
        .size:           4
        .value_kind:     by_value
      - .offset:         32
        .size:           4
        .value_kind:     by_value
      - .offset:         36
        .size:           4
        .value_kind:     by_value
      - .offset:         40
        .size:           12
        .value_kind:     by_value
      - .offset:         52
        .size:           12
        .value_kind:     by_value
      - .offset:         64
        .size:           12
        .value_kind:     by_value
    .group_segment_fixed_size: 0
    .kernarg_segment_align: 8
    .kernarg_segment_size: 76
    .language:       OpenCL C
    .language_version:
      - 2
      - 0
    .max_flat_workgroup_size: 256
    .name:           _ZL33flash_attn_stream_k_fixup_uniformILi256ELi2ELi1EEvPfPK15HIP_vector_typeIfLj2EEiiiiiiS1_IjLj3EES5_S5_
    .private_segment_fixed_size: 0
    .sgpr_count:     23
    .sgpr_spill_count: 0
    .symbol:         _ZL33flash_attn_stream_k_fixup_uniformILi256ELi2ELi1EEvPfPK15HIP_vector_typeIfLj2EEiiiiiiS1_IjLj3EES5_S5_.kd
    .uniform_work_group_size: 1
    .uses_dynamic_stack: false
    .vgpr_count:     12
    .vgpr_spill_count: 0
    .wavefront_size: 32
  - .args:
      - .address_space:  global
        .offset:         0
        .size:           8
        .value_kind:     global_buffer
      - .address_space:  global
        .offset:         8
        .size:           8
        .value_kind:     global_buffer
      - .offset:         16
        .size:           4
        .value_kind:     by_value
      - .offset:         20
        .size:           4
        .value_kind:     by_value
      - .offset:         24
        .size:           4
        .value_kind:     by_value
      - .offset:         28
        .size:           4
        .value_kind:     by_value
      - .offset:         32
        .size:           12
        .value_kind:     by_value
      - .offset:         44
        .size:           12
        .value_kind:     by_value
      - .offset:         56
        .size:           12
        .value_kind:     by_value
      - .offset:         68
        .size:           12
        .value_kind:     by_value
      - .offset:         80
        .size:           4
        .value_kind:     hidden_block_count_x
      - .offset:         84
        .size:           4
        .value_kind:     hidden_block_count_y
      - .offset:         88
        .size:           4
        .value_kind:     hidden_block_count_z
      - .offset:         92
        .size:           2
        .value_kind:     hidden_group_size_x
      - .offset:         94
        .size:           2
        .value_kind:     hidden_group_size_y
      - .offset:         96
        .size:           2
        .value_kind:     hidden_group_size_z
      - .offset:         98
        .size:           2
        .value_kind:     hidden_remainder_x
      - .offset:         100
        .size:           2
        .value_kind:     hidden_remainder_y
      - .offset:         102
        .size:           2
        .value_kind:     hidden_remainder_z
      - .offset:         120
        .size:           8
        .value_kind:     hidden_global_offset_x
      - .offset:         128
        .size:           8
        .value_kind:     hidden_global_offset_y
      - .offset:         136
        .size:           8
        .value_kind:     hidden_global_offset_z
      - .offset:         144
        .size:           2
        .value_kind:     hidden_grid_dims
    .group_segment_fixed_size: 0
    .kernarg_segment_align: 8
    .kernarg_segment_size: 336
    .language:       OpenCL C
    .language_version:
      - 2
      - 0
    .max_flat_workgroup_size: 256
    .name:           _ZL33flash_attn_stream_k_fixup_generalILi256ELi2ELi1EEvPfPK15HIP_vector_typeIfLj2EEiiiiS1_IjLj3EES5_S5_S5_
    .private_segment_fixed_size: 0
    .sgpr_count:     48
    .sgpr_spill_count: 0
    .symbol:         _ZL33flash_attn_stream_k_fixup_generalILi256ELi2ELi1EEvPfPK15HIP_vector_typeIfLj2EEiiiiS1_IjLj3EES5_S5_S5_.kd
    .uniform_work_group_size: 1
    .uses_dynamic_stack: false
    .vgpr_count:     12
    .vgpr_spill_count: 0
    .wavefront_size: 32
  - .args:
      - .address_space:  global
        .offset:         0
        .size:           8
        .value_kind:     global_buffer
      - .address_space:  global
        .offset:         8
        .size:           8
        .value_kind:     global_buffer
      - .address_space:  global
        .offset:         16
        .size:           8
        .value_kind:     global_buffer
      - .address_space:  global
        .offset:         24
        .size:           8
        .value_kind:     global_buffer
      - .address_space:  global
        .offset:         32
        .size:           8
        .value_kind:     global_buffer
      - .address_space:  global
        .offset:         40
        .size:           8
        .value_kind:     global_buffer
      - .address_space:  global
        .offset:         48
        .size:           8
        .value_kind:     global_buffer
      - .address_space:  global
        .offset:         56
        .size:           8
        .value_kind:     global_buffer
      - .offset:         64
        .size:           4
        .value_kind:     by_value
      - .offset:         68
        .size:           4
        .value_kind:     by_value
      - .offset:         72
        .size:           4
        .value_kind:     by_value
      - .offset:         76
        .size:           4
        .value_kind:     by_value
      - .offset:         80
        .size:           4
        .value_kind:     by_value
      - .offset:         84
        .size:           4
        .value_kind:     by_value
      - .offset:         88
        .size:           4
        .value_kind:     by_value
      - .offset:         92
        .size:           12
        .value_kind:     by_value
      - .offset:         104
        .size:           4
        .value_kind:     by_value
      - .offset:         108
        .size:           4
        .value_kind:     by_value
      - .offset:         112
        .size:           4
        .value_kind:     by_value
      - .offset:         116
        .size:           4
        .value_kind:     by_value
      - .offset:         120
        .size:           4
        .value_kind:     by_value
      - .offset:         124
        .size:           4
        .value_kind:     by_value
      - .offset:         128
        .size:           4
        .value_kind:     by_value
      - .offset:         132
        .size:           4
        .value_kind:     by_value
      - .offset:         136
        .size:           4
        .value_kind:     by_value
      - .offset:         140
        .size:           4
        .value_kind:     by_value
      - .offset:         144
        .size:           4
        .value_kind:     by_value
      - .offset:         152
        .size:           8
        .value_kind:     by_value
      - .offset:         160
        .size:           4
        .value_kind:     by_value
      - .offset:         164
        .size:           4
        .value_kind:     by_value
      - .offset:         168
        .size:           8
        .value_kind:     by_value
      - .offset:         176
        .size:           4
        .value_kind:     by_value
      - .offset:         180
        .size:           4
        .value_kind:     by_value
      - .offset:         184
        .size:           4
        .value_kind:     by_value
      - .offset:         188
        .size:           4
        .value_kind:     by_value
      - .offset:         192
        .size:           4
        .value_kind:     by_value
      - .offset:         200
        .size:           8
        .value_kind:     by_value
      - .offset:         208
        .size:           4
        .value_kind:     hidden_block_count_x
      - .offset:         212
        .size:           4
        .value_kind:     hidden_block_count_y
      - .offset:         216
        .size:           4
        .value_kind:     hidden_block_count_z
      - .offset:         220
        .size:           2
        .value_kind:     hidden_group_size_x
      - .offset:         222
        .size:           2
        .value_kind:     hidden_group_size_y
      - .offset:         224
        .size:           2
        .value_kind:     hidden_group_size_z
      - .offset:         226
        .size:           2
        .value_kind:     hidden_remainder_x
      - .offset:         228
        .size:           2
        .value_kind:     hidden_remainder_y
      - .offset:         230
        .size:           2
        .value_kind:     hidden_remainder_z
      - .offset:         248
        .size:           8
        .value_kind:     hidden_global_offset_x
      - .offset:         256
        .size:           8
        .value_kind:     hidden_global_offset_y
      - .offset:         264
        .size:           8
        .value_kind:     hidden_global_offset_z
      - .offset:         272
        .size:           2
        .value_kind:     hidden_grid_dims
    .group_segment_fixed_size: 8704
    .kernarg_segment_align: 8
    .kernarg_segment_size: 464
    .language:       OpenCL C
    .language_version:
      - 2
      - 0
    .max_flat_workgroup_size: 128
    .name:           _ZL18flash_attn_ext_vecILi256ELi2EL9ggml_type1ELS0_1ELb1EEvPKcS2_S2_S2_S2_PKiPfP15HIP_vector_typeIfLj2EEffffjfiS6_IjLj3EEiiiiiiiiiiiliiliiiiil
    .private_segment_fixed_size: 144
    .sgpr_count:     54
    .sgpr_spill_count: 0
    .symbol:         _ZL18flash_attn_ext_vecILi256ELi2EL9ggml_type1ELS0_1ELb1EEvPKcS2_S2_S2_S2_PKiPfP15HIP_vector_typeIfLj2EEffffjfiS6_IjLj3EEiiiiiiiiiiiliiliiiiil.kd
    .uniform_work_group_size: 1
    .uses_dynamic_stack: false
    .vgpr_count:     252
    .vgpr_spill_count: 0
    .wavefront_size: 32
amdhsa.target:   amdgcn-amd-amdhsa--gfx1250
amdhsa.version:
  - 1
  - 2
...

	.end_amdgpu_metadata
